;; amdgpu-corpus repo=ROCm/rocFFT kind=compiled arch=gfx1201 opt=O3
	.text
	.amdgcn_target "amdgcn-amd-amdhsa--gfx1201"
	.amdhsa_code_object_version 6
	.protected	fft_rtc_fwd_len289_factors_17_17_wgs_119_tpt_17_halfLds_dp_ip_CI_sbrr_dirReg ; -- Begin function fft_rtc_fwd_len289_factors_17_17_wgs_119_tpt_17_halfLds_dp_ip_CI_sbrr_dirReg
	.globl	fft_rtc_fwd_len289_factors_17_17_wgs_119_tpt_17_halfLds_dp_ip_CI_sbrr_dirReg
	.p2align	8
	.type	fft_rtc_fwd_len289_factors_17_17_wgs_119_tpt_17_halfLds_dp_ip_CI_sbrr_dirReg,@function
fft_rtc_fwd_len289_factors_17_17_wgs_119_tpt_17_halfLds_dp_ip_CI_sbrr_dirReg: ; @fft_rtc_fwd_len289_factors_17_17_wgs_119_tpt_17_halfLds_dp_ip_CI_sbrr_dirReg
; %bb.0:
	s_clause 0x1
	s_load_b64 s[12:13], s[0:1], 0x18
	s_load_b128 s[4:7], s[0:1], 0x0
	v_mul_u32_u24_e32 v1, 0xf10, v0
	v_mov_b32_e32 v3, 0
	s_load_b64 s[10:11], s[0:1], 0x50
	s_wait_kmcnt 0x0
	s_load_b64 s[8:9], s[12:13], 0x0
	v_lshrrev_b32_e32 v1, 16, v1
	v_cmp_lt_u64_e64 s2, s[6:7], 2
	s_delay_alu instid0(VALU_DEP_2) | instskip(SKIP_2) | instid1(VALU_DEP_4)
	v_mad_co_u64_u32 v[70:71], null, ttmp9, 7, v[1:2]
	v_mov_b32_e32 v1, 0
	v_dual_mov_b32 v2, 0 :: v_dual_mov_b32 v71, v3
	s_and_b32 vcc_lo, exec_lo, s2
	s_delay_alu instid0(VALU_DEP_1)
	v_dual_mov_b32 v7, v70 :: v_dual_mov_b32 v8, v71
	s_cbranch_vccnz .LBB0_8
; %bb.1:
	s_load_b64 s[2:3], s[0:1], 0x10
	v_mov_b32_e32 v1, 0
	v_dual_mov_b32 v2, 0 :: v_dual_mov_b32 v5, v70
	v_mov_b32_e32 v6, v71
	s_add_nc_u64 s[14:15], s[12:13], 8
	s_mov_b64 s[16:17], 1
	s_wait_kmcnt 0x0
	s_add_nc_u64 s[18:19], s[2:3], 8
	s_mov_b32 s3, 0
.LBB0_2:                                ; =>This Inner Loop Header: Depth=1
	s_load_b64 s[20:21], s[18:19], 0x0
                                        ; implicit-def: $vgpr7_vgpr8
	s_mov_b32 s2, exec_lo
	s_wait_kmcnt 0x0
	v_or_b32_e32 v4, s21, v6
	s_delay_alu instid0(VALU_DEP_1)
	v_cmpx_ne_u64_e32 0, v[3:4]
	s_wait_alu 0xfffe
	s_xor_b32 s22, exec_lo, s2
	s_cbranch_execz .LBB0_4
; %bb.3:                                ;   in Loop: Header=BB0_2 Depth=1
	s_cvt_f32_u32 s2, s20
	s_cvt_f32_u32 s23, s21
	s_sub_nc_u64 s[26:27], 0, s[20:21]
	s_wait_alu 0xfffe
	s_delay_alu instid0(SALU_CYCLE_1) | instskip(SKIP_1) | instid1(SALU_CYCLE_2)
	s_fmamk_f32 s2, s23, 0x4f800000, s2
	s_wait_alu 0xfffe
	v_s_rcp_f32 s2, s2
	s_delay_alu instid0(TRANS32_DEP_1) | instskip(SKIP_1) | instid1(SALU_CYCLE_2)
	s_mul_f32 s2, s2, 0x5f7ffffc
	s_wait_alu 0xfffe
	s_mul_f32 s23, s2, 0x2f800000
	s_wait_alu 0xfffe
	s_delay_alu instid0(SALU_CYCLE_2) | instskip(SKIP_1) | instid1(SALU_CYCLE_2)
	s_trunc_f32 s23, s23
	s_wait_alu 0xfffe
	s_fmamk_f32 s2, s23, 0xcf800000, s2
	s_cvt_u32_f32 s25, s23
	s_wait_alu 0xfffe
	s_delay_alu instid0(SALU_CYCLE_1) | instskip(SKIP_1) | instid1(SALU_CYCLE_2)
	s_cvt_u32_f32 s24, s2
	s_wait_alu 0xfffe
	s_mul_u64 s[28:29], s[26:27], s[24:25]
	s_wait_alu 0xfffe
	s_mul_hi_u32 s31, s24, s29
	s_mul_i32 s30, s24, s29
	s_mul_hi_u32 s2, s24, s28
	s_mul_i32 s33, s25, s28
	s_wait_alu 0xfffe
	s_add_nc_u64 s[30:31], s[2:3], s[30:31]
	s_mul_hi_u32 s23, s25, s28
	s_mul_hi_u32 s34, s25, s29
	s_add_co_u32 s2, s30, s33
	s_wait_alu 0xfffe
	s_add_co_ci_u32 s2, s31, s23
	s_mul_i32 s28, s25, s29
	s_add_co_ci_u32 s29, s34, 0
	s_wait_alu 0xfffe
	s_add_nc_u64 s[28:29], s[2:3], s[28:29]
	s_wait_alu 0xfffe
	v_add_co_u32 v4, s2, s24, s28
	s_delay_alu instid0(VALU_DEP_1) | instskip(SKIP_1) | instid1(VALU_DEP_1)
	s_cmp_lg_u32 s2, 0
	s_add_co_ci_u32 s25, s25, s29
	v_readfirstlane_b32 s24, v4
	s_wait_alu 0xfffe
	s_delay_alu instid0(VALU_DEP_1)
	s_mul_u64 s[26:27], s[26:27], s[24:25]
	s_wait_alu 0xfffe
	s_mul_hi_u32 s29, s24, s27
	s_mul_i32 s28, s24, s27
	s_mul_hi_u32 s2, s24, s26
	s_mul_i32 s30, s25, s26
	s_wait_alu 0xfffe
	s_add_nc_u64 s[28:29], s[2:3], s[28:29]
	s_mul_hi_u32 s23, s25, s26
	s_mul_hi_u32 s24, s25, s27
	s_wait_alu 0xfffe
	s_add_co_u32 s2, s28, s30
	s_add_co_ci_u32 s2, s29, s23
	s_mul_i32 s26, s25, s27
	s_add_co_ci_u32 s27, s24, 0
	s_wait_alu 0xfffe
	s_add_nc_u64 s[26:27], s[2:3], s[26:27]
	s_wait_alu 0xfffe
	v_add_co_u32 v4, s2, v4, s26
	s_delay_alu instid0(VALU_DEP_1) | instskip(SKIP_1) | instid1(VALU_DEP_1)
	s_cmp_lg_u32 s2, 0
	s_add_co_ci_u32 s2, s25, s27
	v_mul_hi_u32 v13, v5, v4
	s_wait_alu 0xfffe
	v_mad_co_u64_u32 v[7:8], null, v5, s2, 0
	v_mad_co_u64_u32 v[9:10], null, v6, v4, 0
	;; [unrolled: 1-line block ×3, first 2 shown]
	s_delay_alu instid0(VALU_DEP_3) | instskip(SKIP_1) | instid1(VALU_DEP_4)
	v_add_co_u32 v4, vcc_lo, v13, v7
	s_wait_alu 0xfffd
	v_add_co_ci_u32_e32 v7, vcc_lo, 0, v8, vcc_lo
	s_delay_alu instid0(VALU_DEP_2) | instskip(SKIP_1) | instid1(VALU_DEP_2)
	v_add_co_u32 v4, vcc_lo, v4, v9
	s_wait_alu 0xfffd
	v_add_co_ci_u32_e32 v4, vcc_lo, v7, v10, vcc_lo
	s_wait_alu 0xfffd
	v_add_co_ci_u32_e32 v7, vcc_lo, 0, v12, vcc_lo
	s_delay_alu instid0(VALU_DEP_2) | instskip(SKIP_1) | instid1(VALU_DEP_2)
	v_add_co_u32 v4, vcc_lo, v4, v11
	s_wait_alu 0xfffd
	v_add_co_ci_u32_e32 v9, vcc_lo, 0, v7, vcc_lo
	s_delay_alu instid0(VALU_DEP_2) | instskip(SKIP_1) | instid1(VALU_DEP_3)
	v_mul_lo_u32 v10, s21, v4
	v_mad_co_u64_u32 v[7:8], null, s20, v4, 0
	v_mul_lo_u32 v11, s20, v9
	s_delay_alu instid0(VALU_DEP_2) | instskip(NEXT) | instid1(VALU_DEP_2)
	v_sub_co_u32 v7, vcc_lo, v5, v7
	v_add3_u32 v8, v8, v11, v10
	s_delay_alu instid0(VALU_DEP_1) | instskip(SKIP_1) | instid1(VALU_DEP_1)
	v_sub_nc_u32_e32 v10, v6, v8
	s_wait_alu 0xfffd
	v_subrev_co_ci_u32_e64 v10, s2, s21, v10, vcc_lo
	v_add_co_u32 v11, s2, v4, 2
	s_wait_alu 0xf1ff
	v_add_co_ci_u32_e64 v12, s2, 0, v9, s2
	v_sub_co_u32 v13, s2, v7, s20
	v_sub_co_ci_u32_e32 v8, vcc_lo, v6, v8, vcc_lo
	s_wait_alu 0xf1ff
	v_subrev_co_ci_u32_e64 v10, s2, 0, v10, s2
	s_delay_alu instid0(VALU_DEP_3) | instskip(NEXT) | instid1(VALU_DEP_3)
	v_cmp_le_u32_e32 vcc_lo, s20, v13
	v_cmp_eq_u32_e64 s2, s21, v8
	s_wait_alu 0xfffd
	v_cndmask_b32_e64 v13, 0, -1, vcc_lo
	v_cmp_le_u32_e32 vcc_lo, s21, v10
	s_wait_alu 0xfffd
	v_cndmask_b32_e64 v14, 0, -1, vcc_lo
	v_cmp_le_u32_e32 vcc_lo, s20, v7
	;; [unrolled: 3-line block ×3, first 2 shown]
	s_wait_alu 0xfffd
	v_cndmask_b32_e64 v15, 0, -1, vcc_lo
	v_cmp_eq_u32_e32 vcc_lo, s21, v10
	s_wait_alu 0xf1ff
	s_delay_alu instid0(VALU_DEP_2)
	v_cndmask_b32_e64 v7, v15, v7, s2
	s_wait_alu 0xfffd
	v_cndmask_b32_e32 v10, v14, v13, vcc_lo
	v_add_co_u32 v13, vcc_lo, v4, 1
	s_wait_alu 0xfffd
	v_add_co_ci_u32_e32 v14, vcc_lo, 0, v9, vcc_lo
	s_delay_alu instid0(VALU_DEP_3) | instskip(SKIP_2) | instid1(VALU_DEP_3)
	v_cmp_ne_u32_e32 vcc_lo, 0, v10
	s_wait_alu 0xfffd
	v_cndmask_b32_e32 v10, v13, v11, vcc_lo
	v_cndmask_b32_e32 v8, v14, v12, vcc_lo
	v_cmp_ne_u32_e32 vcc_lo, 0, v7
	s_wait_alu 0xfffd
	s_delay_alu instid0(VALU_DEP_2)
	v_dual_cndmask_b32 v7, v4, v10 :: v_dual_cndmask_b32 v8, v9, v8
.LBB0_4:                                ;   in Loop: Header=BB0_2 Depth=1
	s_wait_alu 0xfffe
	s_and_not1_saveexec_b32 s2, s22
	s_cbranch_execz .LBB0_6
; %bb.5:                                ;   in Loop: Header=BB0_2 Depth=1
	v_cvt_f32_u32_e32 v4, s20
	s_sub_co_i32 s22, 0, s20
	s_delay_alu instid0(VALU_DEP_1) | instskip(NEXT) | instid1(TRANS32_DEP_1)
	v_rcp_iflag_f32_e32 v4, v4
	v_mul_f32_e32 v4, 0x4f7ffffe, v4
	s_delay_alu instid0(VALU_DEP_1) | instskip(SKIP_1) | instid1(VALU_DEP_1)
	v_cvt_u32_f32_e32 v4, v4
	s_wait_alu 0xfffe
	v_mul_lo_u32 v7, s22, v4
	s_delay_alu instid0(VALU_DEP_1) | instskip(NEXT) | instid1(VALU_DEP_1)
	v_mul_hi_u32 v7, v4, v7
	v_add_nc_u32_e32 v4, v4, v7
	s_delay_alu instid0(VALU_DEP_1) | instskip(NEXT) | instid1(VALU_DEP_1)
	v_mul_hi_u32 v4, v5, v4
	v_mul_lo_u32 v7, v4, s20
	v_add_nc_u32_e32 v8, 1, v4
	s_delay_alu instid0(VALU_DEP_2) | instskip(NEXT) | instid1(VALU_DEP_1)
	v_sub_nc_u32_e32 v7, v5, v7
	v_subrev_nc_u32_e32 v9, s20, v7
	v_cmp_le_u32_e32 vcc_lo, s20, v7
	s_wait_alu 0xfffd
	s_delay_alu instid0(VALU_DEP_2) | instskip(NEXT) | instid1(VALU_DEP_1)
	v_dual_cndmask_b32 v7, v7, v9 :: v_dual_cndmask_b32 v4, v4, v8
	v_cmp_le_u32_e32 vcc_lo, s20, v7
	s_delay_alu instid0(VALU_DEP_2) | instskip(SKIP_1) | instid1(VALU_DEP_1)
	v_add_nc_u32_e32 v8, 1, v4
	s_wait_alu 0xfffd
	v_dual_cndmask_b32 v7, v4, v8 :: v_dual_mov_b32 v8, v3
.LBB0_6:                                ;   in Loop: Header=BB0_2 Depth=1
	s_wait_alu 0xfffe
	s_or_b32 exec_lo, exec_lo, s2
	s_load_b64 s[22:23], s[14:15], 0x0
	s_delay_alu instid0(VALU_DEP_1)
	v_mul_lo_u32 v4, v8, s20
	v_mul_lo_u32 v11, v7, s21
	v_mad_co_u64_u32 v[9:10], null, v7, s20, 0
	s_add_nc_u64 s[16:17], s[16:17], 1
	s_add_nc_u64 s[14:15], s[14:15], 8
	s_wait_alu 0xfffe
	v_cmp_ge_u64_e64 s2, s[16:17], s[6:7]
	s_add_nc_u64 s[18:19], s[18:19], 8
	s_delay_alu instid0(VALU_DEP_2) | instskip(NEXT) | instid1(VALU_DEP_3)
	v_add3_u32 v4, v10, v11, v4
	v_sub_co_u32 v5, vcc_lo, v5, v9
	s_wait_alu 0xfffd
	s_delay_alu instid0(VALU_DEP_2) | instskip(SKIP_3) | instid1(VALU_DEP_2)
	v_sub_co_ci_u32_e32 v4, vcc_lo, v6, v4, vcc_lo
	s_and_b32 vcc_lo, exec_lo, s2
	s_wait_kmcnt 0x0
	v_mul_lo_u32 v6, s23, v5
	v_mul_lo_u32 v4, s22, v4
	v_mad_co_u64_u32 v[1:2], null, s22, v5, v[1:2]
	s_delay_alu instid0(VALU_DEP_1)
	v_add3_u32 v2, v6, v2, v4
	s_wait_alu 0xfffe
	s_cbranch_vccnz .LBB0_8
; %bb.7:                                ;   in Loop: Header=BB0_2 Depth=1
	v_dual_mov_b32 v5, v7 :: v_dual_mov_b32 v6, v8
	s_branch .LBB0_2
.LBB0_8:
	s_lshl_b64 s[2:3], s[6:7], 3
	v_mul_hi_u32 v3, 0xf0f0f10, v0
	s_wait_alu 0xfffe
	s_add_nc_u64 s[2:3], s[12:13], s[2:3]
	v_mov_b32_e32 v204, 0
	s_load_b64 s[2:3], s[2:3], 0x0
	s_load_b64 s[0:1], s[0:1], 0x20
                                        ; implicit-def: $vgpr10_vgpr11
                                        ; implicit-def: $vgpr14_vgpr15
                                        ; implicit-def: $vgpr22_vgpr23
                                        ; implicit-def: $vgpr26_vgpr27
                                        ; implicit-def: $vgpr50_vgpr51
                                        ; implicit-def: $vgpr62_vgpr63
                                        ; implicit-def: $vgpr66_vgpr67
                                        ; implicit-def: $vgpr54_vgpr55
                                        ; implicit-def: $vgpr58_vgpr59
                                        ; implicit-def: $vgpr46_vgpr47
                                        ; implicit-def: $vgpr42_vgpr43
                                        ; implicit-def: $vgpr38_vgpr39
                                        ; implicit-def: $vgpr18_vgpr19
                                        ; implicit-def: $vgpr34_vgpr35
                                        ; implicit-def: $vgpr30_vgpr31
	s_delay_alu instid0(VALU_DEP_2) | instskip(NEXT) | instid1(VALU_DEP_1)
	v_mul_u32_u24_e32 v3, 17, v3
	v_sub_nc_u32_e32 v140, v0, v3
	s_wait_kmcnt 0x0
	v_mul_lo_u32 v4, s2, v8
	v_mul_lo_u32 v5, s3, v7
	v_mad_co_u64_u32 v[1:2], null, s2, v7, v[1:2]
	v_cmp_gt_u64_e32 vcc_lo, s[0:1], v[7:8]
                                        ; implicit-def: $vgpr6_vgpr7
	s_delay_alu instid0(VALU_DEP_2) | instskip(NEXT) | instid1(VALU_DEP_1)
	v_add3_u32 v2, v5, v2, v4
	v_lshlrev_b64_e32 v[68:69], 4, v[1:2]
                                        ; implicit-def: $vgpr2_vgpr3
	s_and_saveexec_b32 s1, vcc_lo
	s_cbranch_execz .LBB0_10
; %bb.9:
	v_add_nc_u32_e32 v9, 17, v140
	v_mad_co_u64_u32 v[0:1], null, s8, v140, 0
	v_add_nc_u32_e32 v11, 34, v140
	v_add_co_u32 v50, s0, s10, v68
	s_delay_alu instid0(VALU_DEP_4)
	v_mad_co_u64_u32 v[2:3], null, s8, v9, 0
	v_add_nc_u32_e32 v12, 51, v140
	s_wait_alu 0xf1ff
	v_add_co_ci_u32_e64 v51, s0, s11, v69, s0
	v_add_nc_u32_e32 v25, 0x99, v140
	v_add_nc_u32_e32 v71, 0xff, v140
	;; [unrolled: 1-line block ×3, first 2 shown]
	v_mad_co_u64_u32 v[4:5], null, s9, v140, v[1:2]
	v_mov_b32_e32 v1, v3
	v_mad_co_u64_u32 v[5:6], null, s8, v11, 0
	v_mad_co_u64_u32 v[7:8], null, s8, v12, 0
	s_delay_alu instid0(VALU_DEP_3) | instskip(SKIP_1) | instid1(VALU_DEP_4)
	v_mad_co_u64_u32 v[9:10], null, s9, v9, v[1:2]
	v_dual_mov_b32 v1, v4 :: v_dual_add_nc_u32 v14, 0x66, v140
	v_mov_b32_e32 v4, v6
	v_mov_b32_e32 v204, v140
	s_delay_alu instid0(VALU_DEP_3) | instskip(SKIP_1) | instid1(VALU_DEP_4)
	v_lshlrev_b64_e32 v[0:1], 4, v[0:1]
	v_mov_b32_e32 v3, v9
	v_mad_co_u64_u32 v[9:10], null, s9, v11, v[4:5]
	s_delay_alu instid0(VALU_DEP_2) | instskip(NEXT) | instid1(VALU_DEP_4)
	v_lshlrev_b64_e32 v[2:3], 4, v[2:3]
	v_add_co_u32 v0, s0, v50, v0
	s_wait_alu 0xf1ff
	v_add_co_ci_u32_e64 v1, s0, v51, v1, s0
	s_delay_alu instid0(VALU_DEP_4) | instskip(NEXT) | instid1(VALU_DEP_4)
	v_mov_b32_e32 v6, v9
	v_add_co_u32 v2, s0, v50, v2
	v_mad_co_u64_u32 v[8:9], null, s9, v12, v[8:9]
	v_add_nc_u32_e32 v9, 0x55, v140
	s_wait_alu 0xf1ff
	v_add_co_ci_u32_e64 v3, s0, v51, v3, s0
	s_clause 0x1
	global_load_b128 v[28:31], v[0:1], off
	global_load_b128 v[32:35], v[2:3], off
	v_mad_co_u64_u32 v[3:4], null, s8, v9, 0
	v_add_nc_u32_e32 v13, 0x44, v140
	v_lshlrev_b64_e32 v[0:1], 4, v[5:6]
	s_delay_alu instid0(VALU_DEP_2) | instskip(NEXT) | instid1(VALU_DEP_2)
	v_mad_co_u64_u32 v[10:11], null, s8, v13, 0
	v_add_co_u32 v0, s0, v50, v0
	s_wait_alu 0xf1ff
	s_delay_alu instid0(VALU_DEP_3) | instskip(NEXT) | instid1(VALU_DEP_3)
	v_add_co_ci_u32_e64 v1, s0, v51, v1, s0
	v_mov_b32_e32 v2, v11
	s_delay_alu instid0(VALU_DEP_1) | instskip(SKIP_2) | instid1(VALU_DEP_3)
	v_mad_co_u64_u32 v[5:6], null, s9, v13, v[2:3]
	v_mov_b32_e32 v2, v4
	v_lshlrev_b64_e32 v[6:7], 4, v[7:8]
	v_mov_b32_e32 v11, v5
	s_delay_alu instid0(VALU_DEP_3) | instskip(SKIP_1) | instid1(VALU_DEP_4)
	v_mad_co_u64_u32 v[4:5], null, s9, v9, v[2:3]
	v_mad_co_u64_u32 v[8:9], null, s8, v14, 0
	v_add_co_u32 v5, s0, v50, v6
	s_wait_alu 0xf1ff
	v_add_co_ci_u32_e64 v6, s0, v51, v7, s0
	v_add_nc_u32_e32 v7, 0x77, v140
	v_lshlrev_b64_e32 v[3:4], 4, v[3:4]
	v_mov_b32_e32 v2, v9
	v_lshlrev_b64_e32 v[10:11], 4, v[10:11]
	s_delay_alu instid0(VALU_DEP_4) | instskip(NEXT) | instid1(VALU_DEP_3)
	v_mad_co_u64_u32 v[12:13], null, s8, v7, 0
	v_mad_co_u64_u32 v[14:15], null, s9, v14, v[2:3]
	v_add_nc_u32_e32 v22, 0x88, v140
	s_delay_alu instid0(VALU_DEP_4) | instskip(SKIP_2) | instid1(VALU_DEP_4)
	v_add_co_u32 v10, s0, v50, v10
	s_wait_alu 0xf1ff
	v_add_co_ci_u32_e64 v11, s0, v51, v11, s0
	v_dual_mov_b32 v2, v13 :: v_dual_mov_b32 v9, v14
	v_add_co_u32 v20, s0, v50, v3
	s_wait_alu 0xf1ff
	v_add_co_ci_u32_e64 v21, s0, v51, v4, s0
	s_delay_alu instid0(VALU_DEP_3)
	v_mad_co_u64_u32 v[13:14], null, s9, v7, v[2:3]
	v_mad_co_u64_u32 v[14:15], null, s8, v22, 0
	s_clause 0x3
	global_load_b128 v[0:3], v[0:1], off
	global_load_b128 v[4:7], v[5:6], off
	;; [unrolled: 1-line block ×4, first 2 shown]
	v_lshlrev_b64_e32 v[8:9], 4, v[8:9]
	v_mad_co_u64_u32 v[20:21], null, s8, v25, 0
	v_lshlrev_b64_e32 v[11:12], 4, v[12:13]
	v_dual_mov_b32 v10, v15 :: v_dual_add_nc_u32 v13, 0xaa, v140
	s_delay_alu instid0(VALU_DEP_4) | instskip(SKIP_2) | instid1(VALU_DEP_3)
	v_add_co_u32 v8, s0, v50, v8
	s_wait_alu 0xf1ff
	v_add_co_ci_u32_e64 v9, s0, v51, v9, s0
	v_mad_co_u64_u32 v[22:23], null, s9, v22, v[10:11]
	v_mad_co_u64_u32 v[23:24], null, s8, v13, 0
	v_mov_b32_e32 v10, v21
	v_add_co_u32 v11, s0, v50, v11
	s_wait_alu 0xf1ff
	v_add_co_ci_u32_e64 v12, s0, v51, v12, s0
	v_mov_b32_e32 v15, v22
	s_delay_alu instid0(VALU_DEP_3)
	v_mad_co_u64_u32 v[21:22], null, s9, v25, v[10:11]
	v_mov_b32_e32 v10, v24
	s_clause 0x1
	global_load_b128 v[40:43], v[8:9], off
	global_load_b128 v[44:47], v[11:12], off
	v_mad_co_u64_u32 v[10:11], null, s9, v13, v[10:11]
	v_add_nc_u32_e32 v27, 0xbb, v140
	v_lshlrev_b64_e32 v[12:13], 4, v[20:21]
	s_delay_alu instid0(VALU_DEP_3) | instskip(NEXT) | instid1(VALU_DEP_3)
	v_mov_b32_e32 v24, v10
	v_mad_co_u64_u32 v[25:26], null, s8, v27, 0
	s_delay_alu instid0(VALU_DEP_1) | instskip(NEXT) | instid1(VALU_DEP_1)
	v_mov_b32_e32 v11, v26
	v_mad_co_u64_u32 v[10:11], null, s9, v27, v[11:12]
	s_delay_alu instid0(VALU_DEP_1) | instskip(SKIP_1) | instid1(VALU_DEP_1)
	v_mov_b32_e32 v26, v10
	v_lshlrev_b64_e32 v[8:9], 4, v[14:15]
	v_add_co_u32 v8, s0, v50, v8
	s_wait_alu 0xf1ff
	s_delay_alu instid0(VALU_DEP_2)
	v_add_co_ci_u32_e64 v9, s0, v51, v9, s0
	v_add_co_u32 v11, s0, v50, v12
	s_wait_alu 0xf1ff
	v_add_co_ci_u32_e64 v12, s0, v51, v13, s0
	v_lshlrev_b64_e32 v[13:14], 4, v[23:24]
	s_clause 0x1
	global_load_b128 v[56:59], v[8:9], off
	global_load_b128 v[52:55], v[11:12], off
	v_lshlrev_b64_e32 v[11:12], 4, v[25:26]
	v_mad_co_u64_u32 v[24:25], null, s8, v71, 0
	v_add_nc_u32_e32 v15, 0xcc, v140
	v_add_co_u32 v8, s0, v50, v13
	s_wait_alu 0xf1ff
	v_add_co_ci_u32_e64 v9, s0, v51, v14, s0
	s_delay_alu instid0(VALU_DEP_3) | instskip(SKIP_1) | instid1(VALU_DEP_2)
	v_mad_co_u64_u32 v[20:21], null, s8, v15, 0
	v_mad_co_u64_u32 v[22:23], null, s8, v48, 0
	v_mov_b32_e32 v10, v21
	s_delay_alu instid0(VALU_DEP_1)
	v_mad_co_u64_u32 v[13:14], null, s9, v15, v[10:11]
	v_add_nc_u32_e32 v26, 0xdd, v140
	v_add_co_u32 v10, s0, v50, v11
	s_wait_alu 0xf1ff
	v_add_co_ci_u32_e64 v11, s0, v51, v12, s0
	s_clause 0x1
	global_load_b128 v[64:67], v[8:9], off
	global_load_b128 v[60:63], v[10:11], off
	v_mov_b32_e32 v21, v13
	v_mad_co_u64_u32 v[14:15], null, s8, v26, 0
	v_dual_mov_b32 v13, v23 :: v_dual_mov_b32 v8, v25
	s_delay_alu instid0(VALU_DEP_3) | instskip(NEXT) | instid1(VALU_DEP_3)
	v_lshlrev_b64_e32 v[9:10], 4, v[20:21]
	v_mov_b32_e32 v12, v15
	s_delay_alu instid0(VALU_DEP_1) | instskip(SKIP_2) | instid1(VALU_DEP_3)
	v_mad_co_u64_u32 v[26:27], null, s9, v26, v[12:13]
	v_add_nc_u32_e32 v72, 0x110, v140
	v_mad_co_u64_u32 v[12:13], null, s9, v48, v[13:14]
	v_mov_b32_e32 v15, v26
	s_delay_alu instid0(VALU_DEP_3) | instskip(NEXT) | instid1(VALU_DEP_3)
	v_mad_co_u64_u32 v[48:49], null, s8, v72, 0
	v_mov_b32_e32 v23, v12
	v_mad_co_u64_u32 v[11:12], null, s9, v71, v[8:9]
	v_add_co_u32 v9, s0, v50, v9
	v_lshlrev_b64_e32 v[12:13], 4, v[14:15]
	v_mov_b32_e32 v8, v49
	v_lshlrev_b64_e32 v[20:21], 4, v[22:23]
	s_wait_alu 0xf1ff
	v_add_co_ci_u32_e64 v10, s0, v51, v10, s0
	v_mov_b32_e32 v25, v11
	v_mad_co_u64_u32 v[14:15], null, s9, v72, v[8:9]
	v_add_co_u32 v11, s0, v50, v12
	s_wait_alu 0xf1ff
	v_add_co_ci_u32_e64 v12, s0, v51, v13, s0
	v_lshlrev_b64_e32 v[22:23], 4, v[24:25]
	v_add_co_u32 v13, s0, v50, v20
	v_mov_b32_e32 v49, v14
	s_wait_alu 0xf1ff
	v_add_co_ci_u32_e64 v14, s0, v51, v21, s0
	s_delay_alu instid0(VALU_DEP_4) | instskip(NEXT) | instid1(VALU_DEP_3)
	v_add_co_u32 v71, s0, v50, v22
	v_lshlrev_b64_e32 v[20:21], 4, v[48:49]
	s_wait_alu 0xf1ff
	v_add_co_ci_u32_e64 v72, s0, v51, v23, s0
	s_delay_alu instid0(VALU_DEP_2) | instskip(SKIP_1) | instid1(VALU_DEP_3)
	v_add_co_u32 v73, s0, v50, v20
	s_wait_alu 0xf1ff
	v_add_co_ci_u32_e64 v74, s0, v51, v21, s0
	s_clause 0x4
	global_load_b128 v[48:51], v[9:10], off
	global_load_b128 v[24:27], v[11:12], off
	;; [unrolled: 1-line block ×5, first 2 shown]
.LBB0_10:
	s_wait_alu 0xfffe
	s_or_b32 exec_lo, exec_lo, s1
	s_wait_loadcnt 0xf
	v_add_f64_e32 v[71:72], v[32:33], v[28:29]
	v_add_f64_e32 v[73:74], v[34:35], v[30:31]
	s_wait_loadcnt 0x7
	v_add_f64_e32 v[77:78], v[52:53], v[56:57]
	s_wait_loadcnt 0x4
	v_add_f64_e64 v[91:92], v[38:39], -v[50:51]
	s_mov_b32 s0, 0x370991
	s_mov_b32 s30, 0x75d4884
	;; [unrolled: 1-line block ×16, first 2 shown]
	v_add_f64_e32 v[95:96], v[48:49], v[36:37]
	s_mov_b32 s20, 0x5d8e7cdc
	s_mov_b32 s48, 0x2a9d6da3
	;; [unrolled: 1-line block ×17, first 2 shown]
	v_add_f64_e32 v[71:72], v[0:1], v[71:72]
	v_add_f64_e32 v[73:74], v[2:3], v[73:74]
	s_mov_b32 s39, 0xbfeec746
	s_mov_b32 s41, 0x3fe9895b
	;; [unrolled: 1-line block ×7, first 2 shown]
	s_wait_alu 0xfffe
	s_mov_b32 s2, s20
	s_mov_b32 s36, s48
	;; [unrolled: 1-line block ×8, first 2 shown]
	v_mul_hi_u32 v139, 0x24924925, v70
	s_delay_alu instid0(VALU_DEP_1) | instskip(NEXT) | instid1(VALU_DEP_1)
	v_sub_nc_u32_e32 v141, v70, v139
	v_lshrrev_b32_e32 v141, 1, v141
	s_delay_alu instid0(VALU_DEP_1) | instskip(SKIP_2) | instid1(VALU_DEP_3)
	v_add_nc_u32_e32 v139, v141, v139
	v_add_f64_e32 v[71:72], v[4:5], v[71:72]
	v_add_f64_e32 v[73:74], v[6:7], v[73:74]
	v_lshrrev_b32_e32 v139, 2, v139
	s_delay_alu instid0(VALU_DEP_1) | instskip(NEXT) | instid1(VALU_DEP_1)
	v_mul_lo_u32 v139, v139, 7
	v_sub_nc_u32_e32 v70, v70, v139
	s_delay_alu instid0(VALU_DEP_1) | instskip(NEXT) | instid1(VALU_DEP_1)
	v_mul_u32_u24_e32 v70, 0x121, v70
	v_lshlrev_b32_e32 v139, 3, v70
	s_delay_alu instid0(VALU_DEP_1) | instskip(NEXT) | instid1(VALU_DEP_1)
	v_add_nc_u32_e32 v141, 0, v139
	v_mad_u32_u24 v70, 0x88, v140, v141
	v_add_f64_e32 v[71:72], v[16:17], v[71:72]
	v_add_f64_e32 v[73:74], v[18:19], v[73:74]
	s_delay_alu instid0(VALU_DEP_2) | instskip(NEXT) | instid1(VALU_DEP_2)
	v_add_f64_e32 v[71:72], v[36:37], v[71:72]
	v_add_f64_e32 v[73:74], v[38:39], v[73:74]
	v_add_f64_e64 v[36:37], v[36:37], -v[48:49]
	s_delay_alu instid0(VALU_DEP_3) | instskip(NEXT) | instid1(VALU_DEP_3)
	v_add_f64_e32 v[71:72], v[40:41], v[71:72]
	v_add_f64_e32 v[73:74], v[42:43], v[73:74]
	s_delay_alu instid0(VALU_DEP_2) | instskip(NEXT) | instid1(VALU_DEP_2)
	v_add_f64_e32 v[71:72], v[44:45], v[71:72]
	v_add_f64_e32 v[73:74], v[46:47], v[73:74]
	s_delay_alu instid0(VALU_DEP_2) | instskip(NEXT) | instid1(VALU_DEP_2)
	v_add_f64_e32 v[75:76], v[56:57], v[71:72]
	v_add_f64_e32 v[79:80], v[58:59], v[73:74]
	;; [unrolled: 1-line block ×3, first 2 shown]
	v_add_f64_e64 v[73:74], v[58:59], -v[54:55]
	v_add_f64_e64 v[56:57], v[56:57], -v[52:53]
	v_add_f64_e32 v[58:59], v[52:53], v[75:76]
	v_add_f64_e32 v[81:82], v[54:55], v[79:80]
	;; [unrolled: 1-line block ×3, first 2 shown]
	v_add_f64_e64 v[75:76], v[46:47], -v[66:67]
	v_add_f64_e32 v[79:80], v[64:65], v[44:45]
	v_add_f64_e64 v[54:55], v[44:45], -v[64:65]
	v_add_f64_e32 v[44:45], v[62:63], v[42:43]
	v_add_f64_e32 v[46:47], v[64:65], v[58:59]
	;; [unrolled: 1-line block ×3, first 2 shown]
	v_add_f64_e64 v[66:67], v[42:43], -v[62:63]
	v_add_f64_e32 v[42:43], v[50:51], v[38:39]
	s_wait_loadcnt 0x0
	v_add_f64_e32 v[38:39], v[8:9], v[32:33]
	v_add_f64_e32 v[81:82], v[60:61], v[40:41]
	v_add_f64_e64 v[40:41], v[40:41], -v[60:61]
	v_add_f64_e64 v[32:33], v[32:33], -v[8:9]
	v_add_f64_e32 v[46:47], v[60:61], v[46:47]
	v_add_f64_e32 v[58:59], v[62:63], v[58:59]
	v_mul_f64_e32 v[60:61], s[16:17], v[38:39]
	v_mul_f64_e32 v[62:63], s[22:23], v[38:39]
	;; [unrolled: 1-line block ×8, first 2 shown]
	v_add_f64_e32 v[123:124], v[48:49], v[46:47]
	v_add_f64_e32 v[125:126], v[50:51], v[58:59]
	;; [unrolled: 1-line block ×3, first 2 shown]
	v_add_f64_e64 v[34:35], v[34:35], -v[10:11]
	v_mul_f64_e32 v[48:49], s[0:1], v[38:39]
	v_mul_f64_e32 v[50:51], s[30:31], v[38:39]
	;; [unrolled: 1-line block ×4, first 2 shown]
	v_fma_f64 v[129:130], v[46:47], s[16:17], v[93:94]
	v_fma_f64 v[111:112], v[34:35], s[34:35], v[60:61]
	;; [unrolled: 1-line block ×3, first 2 shown]
	s_wait_alu 0xfffe
	v_fma_f64 v[48:49], v[34:35], s[2:3], v[48:49]
	v_fma_f64 v[87:88], v[34:35], s[48:49], v[50:51]
	;; [unrolled: 1-line block ×14, first 2 shown]
	v_mul_f64_e32 v[34:35], s[2:3], v[32:33]
	v_mul_f64_e32 v[38:39], s[36:37], v[32:33]
	;; [unrolled: 1-line block ×4, first 2 shown]
	v_fma_f64 v[131:132], v[46:47], s[16:17], -v[93:94]
	v_fma_f64 v[133:134], v[46:47], s[22:23], v[97:98]
	v_fma_f64 v[137:138], v[46:47], s[22:23], -v[97:98]
	v_fma_f64 v[143:144], v[46:47], s[24:25], v[99:100]
	;; [unrolled: 2-line block ×3, first 2 shown]
	v_fma_f64 v[149:150], v[46:47], s[12:13], -v[101:102]
	v_add_f64_e32 v[127:128], v[28:29], v[111:112]
	v_add_f64_e32 v[101:102], v[28:29], v[85:86]
	;; [unrolled: 1-line block ×5, first 2 shown]
	v_fma_f64 v[103:104], v[46:47], s[0:1], v[34:35]
	v_fma_f64 v[34:35], v[46:47], s[0:1], -v[34:35]
	v_fma_f64 v[105:106], v[46:47], s[30:31], v[38:39]
	v_fma_f64 v[38:39], v[46:47], s[30:31], -v[38:39]
	;; [unrolled: 2-line block ×4, first 2 shown]
	v_add_f64_e32 v[48:49], v[30:31], v[131:132]
	v_add_f64_e32 v[50:51], v[30:31], v[137:138]
	;; [unrolled: 1-line block ×6, first 2 shown]
	v_add_f64_e64 v[137:138], v[16:17], -v[24:25]
	v_add_f64_e64 v[149:150], v[6:7], -v[22:23]
	v_add_f64_e32 v[97:98], v[30:31], v[103:104]
	v_add_f64_e32 v[34:35], v[30:31], v[34:35]
	v_add_f64_e32 v[103:104], v[28:29], v[87:88]
	v_add_f64_e32 v[32:33], v[30:31], v[105:106]
	v_add_f64_e32 v[38:39], v[30:31], v[38:39]
	v_add_f64_e32 v[105:106], v[28:29], v[89:90]
	v_add_f64_e32 v[93:94], v[30:31], v[109:110]
	v_add_f64_e32 v[109:110], v[28:29], v[58:59]
	v_add_f64_e32 v[46:47], v[30:31], v[83:84]
	v_add_f64_e32 v[87:88], v[30:31], v[129:130]
	v_add_f64_e32 v[129:130], v[28:29], v[113:114]
	v_add_f64_e32 v[89:90], v[30:31], v[133:134]
	v_add_f64_e32 v[113:114], v[28:29], v[62:63]
	v_add_f64_e32 v[83:84], v[30:31], v[143:144]
	v_add_f64_e32 v[58:59], v[30:31], v[145:146]
	v_add_f64_e32 v[62:63], v[30:31], v[151:152]
	v_add_f64_e32 v[64:65], v[30:31], v[153:154]
	v_add_f64_e32 v[30:31], v[24:25], v[16:17]
	v_add_f64_e32 v[16:17], v[24:25], v[123:124]
	v_add_f64_e32 v[24:25], v[12:13], v[0:1]
	v_add_f64_e32 v[133:134], v[28:29], v[117:118]
	v_add_f64_e32 v[117:118], v[28:29], v[119:120]
	v_add_f64_e32 v[119:120], v[28:29], v[121:122]
	v_add_f64_e32 v[121:122], v[28:29], v[135:136]
	v_add_f64_e64 v[28:29], v[18:19], -v[26:27]
	v_add_f64_e32 v[135:136], v[26:27], v[18:19]
	v_add_f64_e32 v[18:19], v[26:27], v[125:126]
	v_add_f64_e64 v[26:27], v[2:3], -v[14:15]
	v_mul_f64_e32 v[125:126], s[6:7], v[24:25]
	s_delay_alu instid0(VALU_DEP_1) | instskip(NEXT) | instid1(VALU_DEP_1)
	v_fma_f64 v[123:124], v[26:27], s[28:29], v[125:126]
	v_add_f64_e32 v[123:124], v[123:124], v[127:128]
	v_mul_f64_e32 v[127:128], s[12:13], v[24:25]
	s_delay_alu instid0(VALU_DEP_1) | instskip(NEXT) | instid1(VALU_DEP_1)
	v_fma_f64 v[143:144], v[26:27], s[44:45], v[127:128]
	v_add_f64_e32 v[129:130], v[143:144], v[129:130]
	;; [unrolled: 4-line block ×4, first 2 shown]
	v_add_f64_e32 v[147:148], v[20:21], v[4:5]
	s_delay_alu instid0(VALU_DEP_1) | instskip(NEXT) | instid1(VALU_DEP_1)
	v_mul_f64_e32 v[151:152], s[22:23], v[147:148]
	v_fma_f64 v[153:154], v[149:150], s[38:39], v[151:152]
	s_delay_alu instid0(VALU_DEP_1) | instskip(SKIP_1) | instid1(VALU_DEP_1)
	v_add_f64_e32 v[123:124], v[153:154], v[123:124]
	v_mul_f64_e32 v[153:154], s[30:31], v[147:148]
	v_fma_f64 v[155:156], v[149:150], s[36:37], v[153:154]
	s_delay_alu instid0(VALU_DEP_1) | instskip(SKIP_1) | instid1(VALU_DEP_1)
	v_add_f64_e32 v[129:130], v[155:156], v[129:130]
	;; [unrolled: 4-line block ×23, first 2 shown]
	v_mul_f64_e32 v[197:198], s[22:23], v[77:78]
	v_fma_f64 v[199:200], v[73:74], s[42:43], v[197:198]
	s_delay_alu instid0(VALU_DEP_1)
	v_add_f64_e32 v[133:134], v[199:200], v[133:134]
	ds_store_2addr_b64 v70, v[123:124], v[129:130] offset0:4 offset1:5
	ds_store_2addr_b64 v70, v[131:132], v[133:134] offset0:6 offset1:7
	v_add_f64_e64 v[129:130], v[4:5], -v[20:21]
	v_add_f64_e32 v[4:5], v[20:21], v[16:17]
	v_mul_f64_e32 v[16:17], s[0:1], v[24:25]
	v_fma_f64 v[20:21], v[26:27], s[42:43], v[143:144]
	v_add_f64_e32 v[123:124], v[22:23], v[6:7]
	v_add_f64_e32 v[6:7], v[22:23], v[18:19]
	v_fma_f64 v[22:23], v[26:27], s[46:47], v[145:146]
	v_fma_f64 v[18:19], v[26:27], s[2:3], v[16:17]
	;; [unrolled: 1-line block ×3, first 2 shown]
	v_add_f64_e32 v[20:21], v[20:21], v[115:116]
	v_mul_f64_e32 v[115:116], s[12:13], v[147:148]
	v_add_f64_e32 v[22:23], v[22:23], v[117:118]
	v_add_f64_e32 v[18:19], v[18:19], v[119:120]
	;; [unrolled: 1-line block ×3, first 2 shown]
	s_delay_alu instid0(VALU_DEP_4) | instskip(SKIP_1) | instid1(VALU_DEP_2)
	v_fma_f64 v[117:118], v[149:150], s[26:27], v[115:116]
	v_fma_f64 v[115:116], v[149:150], s[44:45], v[115:116]
	v_add_f64_e32 v[18:19], v[117:118], v[18:19]
	s_delay_alu instid0(VALU_DEP_2) | instskip(SKIP_1) | instid1(VALU_DEP_1)
	v_add_f64_e32 v[16:17], v[115:116], v[16:17]
	v_fma_f64 v[115:116], v[149:150], s[2:3], v[155:156]
	v_add_f64_e32 v[20:21], v[115:116], v[20:21]
	v_fma_f64 v[115:116], v[149:150], s[54:55], v[157:158]
	s_delay_alu instid0(VALU_DEP_1) | instskip(SKIP_1) | instid1(VALU_DEP_1)
	v_add_f64_e32 v[22:23], v[115:116], v[22:23]
	v_mul_f64_e32 v[115:116], s[30:31], v[30:31]
	v_fma_f64 v[117:118], v[28:29], s[36:37], v[115:116]
	v_fma_f64 v[115:116], v[28:29], s[48:49], v[115:116]
	s_delay_alu instid0(VALU_DEP_2) | instskip(NEXT) | instid1(VALU_DEP_2)
	v_add_f64_e32 v[18:19], v[117:118], v[18:19]
	v_add_f64_e32 v[16:17], v[115:116], v[16:17]
	v_fma_f64 v[115:116], v[28:29], s[44:45], v[163:164]
	s_delay_alu instid0(VALU_DEP_1) | instskip(SKIP_1) | instid1(VALU_DEP_1)
	v_add_f64_e32 v[20:21], v[115:116], v[20:21]
	v_fma_f64 v[115:116], v[28:29], s[40:41], v[165:166]
	v_add_f64_e32 v[22:23], v[115:116], v[22:23]
	v_mul_f64_e32 v[115:116], s[24:25], v[95:96]
	s_delay_alu instid0(VALU_DEP_1) | instskip(SKIP_1) | instid1(VALU_DEP_2)
	v_fma_f64 v[117:118], v[91:92], s[40:41], v[115:116]
	v_fma_f64 v[115:116], v[91:92], s[52:53], v[115:116]
	v_add_f64_e32 v[18:19], v[117:118], v[18:19]
	s_delay_alu instid0(VALU_DEP_2) | instskip(SKIP_1) | instid1(VALU_DEP_1)
	v_add_f64_e32 v[16:17], v[115:116], v[16:17]
	v_fma_f64 v[115:116], v[91:92], s[34:35], v[171:172]
	v_add_f64_e32 v[20:21], v[115:116], v[20:21]
	v_fma_f64 v[115:116], v[91:92], s[2:3], v[173:174]
	s_delay_alu instid0(VALU_DEP_1) | instskip(SKIP_1) | instid1(VALU_DEP_1)
	v_add_f64_e32 v[22:23], v[115:116], v[22:23]
	v_mul_f64_e32 v[115:116], s[14:15], v[81:82]
	v_fma_f64 v[117:118], v[66:67], s[18:19], v[115:116]
	v_fma_f64 v[115:116], v[66:67], s[46:47], v[115:116]
	s_delay_alu instid0(VALU_DEP_2) | instskip(NEXT) | instid1(VALU_DEP_2)
	v_add_f64_e32 v[18:19], v[117:118], v[18:19]
	v_add_f64_e32 v[16:17], v[115:116], v[16:17]
	v_fma_f64 v[115:116], v[66:67], s[36:37], v[179:180]
	s_delay_alu instid0(VALU_DEP_1) | instskip(SKIP_1) | instid1(VALU_DEP_1)
	v_add_f64_e32 v[20:21], v[115:116], v[20:21]
	v_fma_f64 v[115:116], v[66:67], s[50:51], v[181:182]
	v_add_f64_e32 v[22:23], v[115:116], v[22:23]
	v_mul_f64_e32 v[115:116], s[22:23], v[79:80]
	s_delay_alu instid0(VALU_DEP_1) | instskip(SKIP_1) | instid1(VALU_DEP_2)
	v_fma_f64 v[117:118], v[75:76], s[42:43], v[115:116]
	v_fma_f64 v[115:116], v[75:76], s[38:39], v[115:116]
	v_add_f64_e32 v[18:19], v[117:118], v[18:19]
	s_delay_alu instid0(VALU_DEP_2) | instskip(SKIP_1) | instid1(VALU_DEP_1)
	v_add_f64_e32 v[16:17], v[115:116], v[16:17]
	v_fma_f64 v[115:116], v[75:76], s[50:51], v[187:188]
	v_add_f64_e32 v[20:21], v[115:116], v[20:21]
	v_fma_f64 v[115:116], v[75:76], s[48:49], v[189:190]
	s_delay_alu instid0(VALU_DEP_1) | instskip(SKIP_1) | instid1(VALU_DEP_1)
	v_add_f64_e32 v[22:23], v[115:116], v[22:23]
	v_mul_f64_e32 v[115:116], s[16:17], v[77:78]
	v_fma_f64 v[117:118], v[73:74], s[54:55], v[115:116]
	v_fma_f64 v[115:116], v[73:74], s[34:35], v[115:116]
	s_delay_alu instid0(VALU_DEP_2) | instskip(NEXT) | instid1(VALU_DEP_2)
	v_add_f64_e32 v[18:19], v[117:118], v[18:19]
	v_add_f64_e32 v[16:17], v[115:116], v[16:17]
	v_fma_f64 v[115:116], v[73:74], s[46:47], v[195:196]
	v_add_f64_e64 v[117:118], v[0:1], -v[12:13]
	v_add_f64_e32 v[0:1], v[12:13], v[4:5]
	v_fma_f64 v[4:5], v[26:27], s[50:51], v[125:126]
	v_mul_f64_e32 v[12:13], s[16:17], v[24:25]
	v_add_f64_e32 v[20:21], v[115:116], v[20:21]
	v_fma_f64 v[115:116], v[73:74], s[38:39], v[197:198]
	v_add_f64_e32 v[0:1], v[8:9], v[0:1]
	v_add_f64_e32 v[4:5], v[4:5], v[111:112]
	s_delay_alu instid0(VALU_DEP_3)
	v_add_f64_e32 v[22:23], v[115:116], v[22:23]
	ds_store_2addr_b64 v70, v[18:19], v[16:17] offset0:8 offset1:9
	ds_store_2addr_b64 v70, v[22:23], v[20:21] offset0:10 offset1:11
	v_add_f64_e32 v[115:116], v[14:15], v[2:3]
	v_add_f64_e32 v[2:3], v[14:15], v[6:7]
	v_fma_f64 v[6:7], v[26:27], s[26:27], v[127:128]
	v_fma_f64 v[20:21], v[149:150], s[42:43], v[151:152]
	;; [unrolled: 1-line block ×3, first 2 shown]
	v_mul_f64_e32 v[16:17], s[24:25], v[24:25]
	s_delay_alu instid0(VALU_DEP_4) | instskip(NEXT) | instid1(VALU_DEP_4)
	v_add_f64_e32 v[6:7], v[6:7], v[113:114]
	v_add_f64_e32 v[4:5], v[20:21], v[4:5]
	v_fma_f64 v[20:21], v[149:150], s[48:49], v[153:154]
	v_add_f64_e32 v[14:15], v[14:15], v[107:108]
	v_fma_f64 v[18:19], v[26:27], s[52:53], v[16:17]
	s_delay_alu instid0(VALU_DEP_3) | instskip(SKIP_1) | instid1(VALU_DEP_3)
	v_add_f64_e32 v[6:7], v[20:21], v[6:7]
	v_mul_f64_e32 v[20:21], s[24:25], v[147:148]
	v_add_f64_e32 v[18:19], v[18:19], v[109:110]
	s_delay_alu instid0(VALU_DEP_2) | instskip(NEXT) | instid1(VALU_DEP_1)
	v_fma_f64 v[22:23], v[149:150], s[52:53], v[20:21]
	v_add_f64_e32 v[14:15], v[22:23], v[14:15]
	v_mul_f64_e32 v[22:23], s[6:7], v[147:148]
	s_delay_alu instid0(VALU_DEP_1) | instskip(NEXT) | instid1(VALU_DEP_1)
	v_fma_f64 v[107:108], v[149:150], s[28:29], v[22:23]
	v_add_f64_e32 v[18:19], v[107:108], v[18:19]
	v_fma_f64 v[107:108], v[28:29], s[20:21], v[159:160]
	s_delay_alu instid0(VALU_DEP_1) | instskip(SKIP_1) | instid1(VALU_DEP_1)
	v_add_f64_e32 v[4:5], v[107:108], v[4:5]
	v_fma_f64 v[107:108], v[28:29], s[18:19], v[161:162]
	v_add_f64_e32 v[6:7], v[107:108], v[6:7]
	v_mul_f64_e32 v[107:108], s[6:7], v[30:31]
	s_delay_alu instid0(VALU_DEP_1) | instskip(NEXT) | instid1(VALU_DEP_1)
	v_fma_f64 v[109:110], v[28:29], s[50:51], v[107:108]
	v_add_f64_e32 v[14:15], v[109:110], v[14:15]
	v_mul_f64_e32 v[109:110], s[22:23], v[30:31]
	s_delay_alu instid0(VALU_DEP_1) | instskip(NEXT) | instid1(VALU_DEP_1)
	v_fma_f64 v[111:112], v[28:29], s[42:43], v[109:110]
	v_add_f64_e32 v[18:19], v[111:112], v[18:19]
	v_fma_f64 v[111:112], v[91:92], s[18:19], v[167:168]
	s_delay_alu instid0(VALU_DEP_1) | instskip(SKIP_1) | instid1(VALU_DEP_1)
	v_add_f64_e32 v[4:5], v[111:112], v[4:5]
	v_fma_f64 v[111:112], v[91:92], s[50:51], v[169:170]
	v_add_f64_e32 v[6:7], v[111:112], v[6:7]
	v_mul_f64_e32 v[111:112], s[12:13], v[95:96]
	s_delay_alu instid0(VALU_DEP_1) | instskip(NEXT) | instid1(VALU_DEP_1)
	;; [unrolled: 13-line block ×5, first 2 shown]
	v_fma_f64 v[133:134], v[73:74], s[20:21], v[131:132]
	v_add_f64_e32 v[14:15], v[133:134], v[14:15]
	v_mul_f64_e32 v[133:134], s[12:13], v[77:78]
	s_delay_alu instid0(VALU_DEP_1) | instskip(NEXT) | instid1(VALU_DEP_1)
	v_fma_f64 v[143:144], v[73:74], s[44:45], v[133:134]
	v_add_f64_e32 v[18:19], v[143:144], v[18:19]
	v_add_f64_e32 v[143:144], v[10:11], v[2:3]
	v_fma_f64 v[2:3], v[26:27], s[34:35], v[12:13]
	ds_store_2addr_b64 v70, v[6:7], v[4:5] offset0:12 offset1:13
	ds_store_2addr_b64 v70, v[18:19], v[14:15] offset0:14 offset1:15
	v_fma_f64 v[4:5], v[26:27], s[40:41], v[16:17]
	v_fma_f64 v[10:11], v[149:150], s[40:41], v[20:21]
	v_add_f64_e32 v[2:3], v[2:3], v[103:104]
	v_mul_f64_e32 v[6:7], s[30:31], v[24:25]
	v_mul_f64_e32 v[103:104], s[48:49], v[36:37]
	v_add_f64_e32 v[4:5], v[4:5], v[105:106]
	s_delay_alu instid0(VALU_DEP_4) | instskip(SKIP_2) | instid1(VALU_DEP_2)
	v_add_f64_e32 v[2:3], v[10:11], v[2:3]
	v_fma_f64 v[10:11], v[149:150], s[50:51], v[22:23]
	v_fma_f64 v[8:9], v[26:27], s[48:49], v[6:7]
	v_add_f64_e32 v[4:5], v[10:11], v[4:5]
	v_mul_f64_e32 v[10:11], s[14:15], v[147:148]
	s_delay_alu instid0(VALU_DEP_3) | instskip(SKIP_2) | instid1(VALU_DEP_4)
	v_add_f64_e32 v[8:9], v[8:9], v[101:102]
	v_mul_f64_e32 v[101:102], s[26:27], v[36:37]
	v_mul_f64_e32 v[147:148], s[44:45], v[56:57]
	v_fma_f64 v[12:13], v[149:150], s[46:47], v[10:11]
	s_delay_alu instid0(VALU_DEP_1) | instskip(SKIP_1) | instid1(VALU_DEP_1)
	v_add_f64_e32 v[8:9], v[12:13], v[8:9]
	v_fma_f64 v[12:13], v[28:29], s[28:29], v[107:108]
	v_add_f64_e32 v[2:3], v[12:13], v[2:3]
	v_fma_f64 v[12:13], v[28:29], s[38:39], v[109:110]
	v_mul_f64_e32 v[108:109], s[52:53], v[40:41]
	s_delay_alu instid0(VALU_DEP_2) | instskip(SKIP_1) | instid1(VALU_DEP_1)
	v_add_f64_e32 v[4:5], v[12:13], v[4:5]
	v_mul_f64_e32 v[12:13], s[16:17], v[30:31]
	v_fma_f64 v[14:15], v[28:29], s[34:35], v[12:13]
	s_delay_alu instid0(VALU_DEP_1) | instskip(SKIP_2) | instid1(VALU_DEP_2)
	v_add_f64_e32 v[8:9], v[14:15], v[8:9]
	v_fma_f64 v[14:15], v[91:92], s[44:45], v[111:112]
	v_mul_f64_e32 v[110:111], s[42:43], v[40:41]
	v_add_f64_e32 v[2:3], v[14:15], v[2:3]
	v_fma_f64 v[14:15], v[91:92], s[36:37], v[113:114]
	v_mul_f64_e32 v[112:113], s[2:3], v[40:41]
	s_delay_alu instid0(VALU_DEP_2) | instskip(SKIP_2) | instid1(VALU_DEP_2)
	v_add_f64_e32 v[4:5], v[14:15], v[4:5]
	v_mul_f64_e32 v[14:15], s[22:23], v[95:96]
	v_mul_f64_e32 v[95:96], s[50:51], v[137:138]
	v_fma_f64 v[16:17], v[91:92], s[42:43], v[14:15]
	s_delay_alu instid0(VALU_DEP_1) | instskip(SKIP_2) | instid1(VALU_DEP_2)
	v_add_f64_e32 v[8:9], v[16:17], v[8:9]
	v_fma_f64 v[16:17], v[66:67], s[38:39], v[119:120]
	v_mul_f64_e32 v[119:120], s[44:45], v[54:55]
	v_add_f64_e32 v[2:3], v[16:17], v[2:3]
	v_fma_f64 v[16:17], v[66:67], s[20:21], v[121:122]
	v_mul_f64_e32 v[121:122], s[46:47], v[54:55]
	s_delay_alu instid0(VALU_DEP_2) | instskip(SKIP_2) | instid1(VALU_DEP_2)
	v_add_f64_e32 v[4:5], v[16:17], v[4:5]
	v_mul_f64_e32 v[16:17], s[24:25], v[81:82]
	;; [unrolled: 12-line block ×3, first 2 shown]
	v_mul_f64_e32 v[79:80], s[18:19], v[129:130]
	v_fma_f64 v[20:21], v[75:76], s[26:27], v[18:19]
	s_delay_alu instid0(VALU_DEP_1) | instskip(SKIP_1) | instid1(VALU_DEP_1)
	v_add_f64_e32 v[8:9], v[20:21], v[8:9]
	v_fma_f64 v[20:21], v[73:74], s[2:3], v[131:132]
	v_add_f64_e32 v[2:3], v[20:21], v[2:3]
	v_fma_f64 v[20:21], v[73:74], s[26:27], v[133:134]
	v_mul_f64_e32 v[133:134], s[20:21], v[56:57]
	s_delay_alu instid0(VALU_DEP_2) | instskip(SKIP_2) | instid1(VALU_DEP_2)
	v_add_f64_e32 v[4:5], v[20:21], v[4:5]
	v_mul_f64_e32 v[20:21], s[6:7], v[77:78]
	v_mul_f64_e32 v[77:78], s[52:53], v[117:118]
	v_fma_f64 v[22:23], v[73:74], s[28:29], v[20:21]
	s_delay_alu instid0(VALU_DEP_1)
	v_add_f64_e32 v[8:9], v[22:23], v[8:9]
	ds_store_2addr_b64 v70, v[2:3], v[4:5] offset0:2 offset1:3
	ds_store_2addr_b64 v70, v[0:1], v[8:9] offset1:1
	v_fma_f64 v[0:1], v[26:27], s[36:37], v[6:7]
	v_fma_f64 v[4:5], v[28:29], s[54:55], v[12:13]
	;; [unrolled: 1-line block ×3, first 2 shown]
	v_mul_f64_e32 v[73:74], s[36:37], v[117:118]
	v_fma_f64 v[2:3], v[149:150], s[18:19], v[10:11]
	v_fma_f64 v[6:7], v[91:92], s[38:39], v[14:15]
	;; [unrolled: 1-line block ×3, first 2 shown]
	v_mul_f64_e32 v[75:76], s[54:55], v[117:118]
	v_fma_f64 v[18:19], v[115:116], s[24:25], v[77:78]
	v_fma_f64 v[8:9], v[66:67], s[52:53], v[16:17]
	v_mul_f64_e32 v[91:92], s[28:29], v[129:130]
	v_add_f64_e32 v[0:1], v[0:1], v[99:100]
	v_mul_f64_e32 v[99:100], s[38:39], v[36:37]
	v_fma_f64 v[14:15], v[115:116], s[30:31], v[73:74]
	v_fma_f64 v[16:17], v[115:116], s[16:17], v[75:76]
	v_add_f64_e32 v[18:19], v[18:19], v[93:94]
	v_mul_f64_e32 v[93:94], s[54:55], v[137:138]
	v_add_f64_e32 v[0:1], v[2:3], v[0:1]
	v_fma_f64 v[2:3], v[123:124], s[14:15], v[79:80]
	v_add_f64_e32 v[14:15], v[14:15], v[97:98]
	v_mul_f64_e32 v[97:98], s[42:43], v[137:138]
	v_add_f64_e32 v[16:17], v[16:17], v[32:33]
	v_add_f64_e32 v[0:1], v[4:5], v[0:1]
	v_fma_f64 v[4:5], v[135:136], s[16:17], v[93:94]
	v_add_f64_e32 v[2:3], v[2:3], v[14:15]
	v_fma_f64 v[14:15], v[123:124], s[24:25], v[81:82]
	s_delay_alu instid0(VALU_DEP_4) | instskip(SKIP_1) | instid1(VALU_DEP_4)
	v_add_f64_e32 v[0:1], v[6:7], v[0:1]
	v_fma_f64 v[6:7], v[42:43], s[22:23], v[99:100]
	v_add_f64_e32 v[2:3], v[4:5], v[2:3]
	s_delay_alu instid0(VALU_DEP_4)
	v_add_f64_e32 v[14:15], v[14:15], v[16:17]
	v_fma_f64 v[16:17], v[123:124], s[6:7], v[91:92]
	v_fma_f64 v[4:5], v[135:136], s[6:7], v[95:96]
	v_add_f64_e32 v[0:1], v[8:9], v[0:1]
	v_fma_f64 v[8:9], v[44:45], s[24:25], v[108:109]
	v_add_f64_e32 v[2:3], v[6:7], v[2:3]
	;; [unrolled: 2-line block ×3, first 2 shown]
	v_add_f64_e32 v[4:5], v[4:5], v[14:15]
	v_fma_f64 v[14:15], v[135:136], s[22:23], v[97:98]
	v_add_f64_e32 v[0:1], v[10:11], v[0:1]
	v_add_f64_e32 v[2:3], v[8:9], v[2:3]
	v_fma_f64 v[8:9], v[44:45], s[22:23], v[110:111]
	v_add_f64_e32 v[4:5], v[6:7], v[4:5]
	v_add_f64_e32 v[14:15], v[14:15], v[16:17]
	v_fma_f64 v[6:7], v[42:43], s[30:31], v[103:104]
	v_add_f64_e32 v[0:1], v[12:13], v[0:1]
	s_delay_alu instid0(VALU_DEP_4) | instskip(SKIP_1) | instid1(VALU_DEP_4)
	v_add_f64_e32 v[4:5], v[8:9], v[4:5]
	v_fma_f64 v[8:9], v[44:45], s[0:1], v[112:113]
	v_add_f64_e32 v[6:7], v[6:7], v[14:15]
	ds_store_b64 v70, v[0:1] offset:128
	v_lshlrev_b32_e32 v0, 3, v140
	global_wb scope:SCOPE_SE
	s_wait_dscnt 0x0
	s_barrier_signal -1
	s_barrier_wait -1
	global_inv scope:SCOPE_SE
	v_add3_u32 v66, 0, v0, v139
	v_add_nc_u32_e32 v32, v141, v0
	v_add_f64_e32 v[6:7], v[8:9], v[6:7]
	v_fma_f64 v[8:9], v[52:53], s[12:13], v[119:120]
	s_delay_alu instid0(VALU_DEP_4) | instskip(NEXT) | instid1(VALU_DEP_2)
	v_add_nc_u32_e32 v33, 0x400, v66
	v_add_f64_e32 v[2:3], v[8:9], v[2:3]
	v_fma_f64 v[8:9], v[52:53], s[14:15], v[121:122]
	s_delay_alu instid0(VALU_DEP_1) | instskip(SKIP_1) | instid1(VALU_DEP_1)
	v_add_f64_e32 v[4:5], v[8:9], v[4:5]
	v_fma_f64 v[8:9], v[52:53], s[16:17], v[125:126]
	v_add_f64_e32 v[6:7], v[8:9], v[6:7]
	v_fma_f64 v[8:9], v[71:72], s[6:7], v[127:128]
	s_delay_alu instid0(VALU_DEP_1) | instskip(SKIP_1) | instid1(VALU_DEP_1)
	v_add_f64_e32 v[131:132], v[8:9], v[2:3]
	v_fma_f64 v[2:3], v[71:72], s[0:1], v[133:134]
	v_add_f64_e32 v[145:146], v[2:3], v[4:5]
	v_fma_f64 v[2:3], v[71:72], s[12:13], v[147:148]
	s_delay_alu instid0(VALU_DEP_1)
	v_add_f64_e32 v[149:150], v[2:3], v[6:7]
	ds_load_b64 v[106:107], v32
	ds_load_2addr_b64 v[4:7], v66 offset0:17 offset1:34
	ds_load_2addr_b64 v[12:15], v66 offset0:51 offset1:68
	;; [unrolled: 1-line block ×8, first 2 shown]
	global_wb scope:SCOPE_SE
	s_wait_dscnt 0x0
	s_barrier_signal -1
	s_barrier_wait -1
	global_inv scope:SCOPE_SE
	ds_store_2addr_b64 v70, v[143:144], v[131:132] offset1:1
	ds_store_2addr_b64 v70, v[145:146], v[149:150] offset0:2 offset1:3
	v_mul_f64_e32 v[131:132], s[50:51], v[117:118]
	s_delay_alu instid0(VALU_DEP_1) | instskip(NEXT) | instid1(VALU_DEP_1)
	v_fma_f64 v[143:144], v[115:116], s[6:7], v[131:132]
	v_add_f64_e32 v[87:88], v[143:144], v[87:88]
	v_mul_f64_e32 v[143:144], s[26:27], v[117:118]
	s_delay_alu instid0(VALU_DEP_1) | instskip(NEXT) | instid1(VALU_DEP_1)
	v_fma_f64 v[145:146], v[115:116], s[12:13], v[143:144]
	v_add_f64_e32 v[89:90], v[145:146], v[89:90]
	;; [unrolled: 4-line block ×21, first 2 shown]
	v_mul_f64_e32 v[185:186], s[2:3], v[36:37]
	v_mul_f64_e32 v[36:37], s[52:53], v[36:37]
	s_delay_alu instid0(VALU_DEP_2) | instskip(NEXT) | instid1(VALU_DEP_1)
	v_fma_f64 v[187:188], v[42:43], s[0:1], v[185:186]
	v_add_f64_e32 v[85:86], v[187:188], v[85:86]
	v_mul_f64_e32 v[187:188], s[36:37], v[40:41]
	s_delay_alu instid0(VALU_DEP_1) | instskip(NEXT) | instid1(VALU_DEP_1)
	v_fma_f64 v[189:190], v[44:45], s[30:31], v[187:188]
	v_add_f64_e32 v[83:84], v[189:190], v[83:84]
	v_mul_f64_e32 v[189:190], s[50:51], v[40:41]
	v_mul_f64_e32 v[40:41], s[46:47], v[40:41]
	s_delay_alu instid0(VALU_DEP_2) | instskip(NEXT) | instid1(VALU_DEP_1)
	v_fma_f64 v[191:192], v[44:45], s[6:7], v[189:190]
	v_add_f64_e32 v[85:86], v[191:192], v[85:86]
	v_mul_f64_e32 v[191:192], s[50:51], v[54:55]
	s_delay_alu instid0(VALU_DEP_1) | instskip(NEXT) | instid1(VALU_DEP_1)
	v_fma_f64 v[193:194], v[52:53], s[6:7], v[191:192]
	v_add_f64_e32 v[83:84], v[193:194], v[83:84]
	v_mul_f64_e32 v[193:194], s[48:49], v[54:55]
	s_delay_alu instid0(VALU_DEP_1) | instskip(NEXT) | instid1(VALU_DEP_1)
	;; [unrolled: 4-line block ×4, first 2 shown]
	v_fma_f64 v[199:200], v[71:72], s[22:23], v[197:198]
	v_add_f64_e32 v[85:86], v[199:200], v[85:86]
	ds_store_2addr_b64 v70, v[87:88], v[89:90] offset0:4 offset1:5
	ds_store_2addr_b64 v70, v[83:84], v[85:86] offset0:6 offset1:7
	v_mul_f64_e32 v[83:84], s[20:21], v[117:118]
	s_delay_alu instid0(VALU_DEP_1) | instskip(SKIP_1) | instid1(VALU_DEP_2)
	v_fma_f64 v[85:86], v[115:116], s[0:1], v[83:84]
	v_fma_f64 v[83:84], v[115:116], s[0:1], -v[83:84]
	v_add_f64_e32 v[62:63], v[85:86], v[62:63]
	s_delay_alu instid0(VALU_DEP_2) | instskip(SKIP_1) | instid1(VALU_DEP_1)
	v_add_f64_e32 v[64:65], v[83:84], v[64:65]
	v_mul_f64_e32 v[83:84], s[44:45], v[129:130]
	v_fma_f64 v[85:86], v[123:124], s[12:13], v[83:84]
	v_fma_f64 v[83:84], v[123:124], s[12:13], -v[83:84]
	s_delay_alu instid0(VALU_DEP_2) | instskip(NEXT) | instid1(VALU_DEP_2)
	v_add_f64_e32 v[62:63], v[85:86], v[62:63]
	v_add_f64_e32 v[64:65], v[83:84], v[64:65]
	v_mul_f64_e32 v[83:84], s[48:49], v[137:138]
	s_delay_alu instid0(VALU_DEP_1) | instskip(SKIP_1) | instid1(VALU_DEP_2)
	v_fma_f64 v[85:86], v[135:136], s[30:31], v[83:84]
	v_fma_f64 v[83:84], v[135:136], s[30:31], -v[83:84]
	v_add_f64_e32 v[62:63], v[85:86], v[62:63]
	s_delay_alu instid0(VALU_DEP_2) | instskip(SKIP_2) | instid1(VALU_DEP_2)
	v_add_f64_e32 v[64:65], v[83:84], v[64:65]
	v_fma_f64 v[83:84], v[42:43], s[24:25], v[36:37]
	v_fma_f64 v[36:37], v[42:43], s[24:25], -v[36:37]
	v_add_f64_e32 v[62:63], v[83:84], v[62:63]
	s_delay_alu instid0(VALU_DEP_2) | instskip(SKIP_2) | instid1(VALU_DEP_2)
	v_add_f64_e32 v[36:37], v[36:37], v[64:65]
	v_fma_f64 v[64:65], v[44:45], s[14:15], v[40:41]
	v_fma_f64 v[40:41], v[44:45], s[14:15], -v[40:41]
	v_add_f64_e32 v[62:63], v[64:65], v[62:63]
	s_delay_alu instid0(VALU_DEP_2) | instskip(SKIP_1) | instid1(VALU_DEP_1)
	v_add_f64_e32 v[36:37], v[40:41], v[36:37]
	v_mul_f64_e32 v[40:41], s[38:39], v[54:55]
	v_fma_f64 v[54:55], v[52:53], s[22:23], v[40:41]
	v_fma_f64 v[40:41], v[52:53], s[22:23], -v[40:41]
	s_delay_alu instid0(VALU_DEP_2) | instskip(NEXT) | instid1(VALU_DEP_2)
	v_add_f64_e32 v[54:55], v[54:55], v[62:63]
	v_add_f64_e32 v[36:37], v[40:41], v[36:37]
	v_mul_f64_e32 v[40:41], s[34:35], v[56:57]
	s_delay_alu instid0(VALU_DEP_1) | instskip(SKIP_1) | instid1(VALU_DEP_2)
	v_fma_f64 v[56:57], v[71:72], s[16:17], v[40:41]
	v_fma_f64 v[40:41], v[71:72], s[16:17], -v[40:41]
	v_add_f64_e32 v[54:55], v[56:57], v[54:55]
	s_delay_alu instid0(VALU_DEP_2) | instskip(SKIP_2) | instid1(VALU_DEP_2)
	v_add_f64_e32 v[36:37], v[40:41], v[36:37]
	v_fma_f64 v[40:41], v[115:116], s[22:23], -v[171:172]
	v_fma_f64 v[56:57], v[115:116], s[14:15], -v[173:174]
	v_add_f64_e32 v[40:41], v[40:41], v[58:59]
	v_fma_f64 v[58:59], v[123:124], s[0:1], -v[175:176]
	s_delay_alu instid0(VALU_DEP_3) | instskip(NEXT) | instid1(VALU_DEP_2)
	v_add_f64_e32 v[56:57], v[56:57], v[60:61]
	v_add_f64_e32 v[40:41], v[58:59], v[40:41]
	v_fma_f64 v[58:59], v[123:124], s[16:17], -v[177:178]
	s_delay_alu instid0(VALU_DEP_1) | instskip(SKIP_1) | instid1(VALU_DEP_1)
	v_add_f64_e32 v[56:57], v[58:59], v[56:57]
	v_fma_f64 v[58:59], v[135:136], s[12:13], -v[179:180]
	v_add_f64_e32 v[40:41], v[58:59], v[40:41]
	v_fma_f64 v[58:59], v[135:136], s[24:25], -v[181:182]
	s_delay_alu instid0(VALU_DEP_1) | instskip(SKIP_1) | instid1(VALU_DEP_1)
	v_add_f64_e32 v[56:57], v[58:59], v[56:57]
	v_fma_f64 v[58:59], v[42:43], s[16:17], -v[183:184]
	;; [unrolled: 5-line block ×5, first 2 shown]
	v_add_f64_e32 v[40:41], v[58:59], v[40:41]
	v_fma_f64 v[58:59], v[71:72], s[22:23], -v[197:198]
	s_delay_alu instid0(VALU_DEP_1) | instskip(SKIP_4) | instid1(VALU_DEP_2)
	v_add_f64_e32 v[56:57], v[58:59], v[56:57]
	ds_store_2addr_b64 v70, v[54:55], v[36:37] offset0:8 offset1:9
	ds_store_2addr_b64 v70, v[56:57], v[40:41] offset0:10 offset1:11
	v_fma_f64 v[36:37], v[115:116], s[6:7], -v[131:132]
	v_fma_f64 v[40:41], v[115:116], s[12:13], -v[143:144]
	v_add_f64_e32 v[36:37], v[36:37], v[48:49]
	v_fma_f64 v[48:49], v[123:124], s[22:23], -v[145:146]
	s_delay_alu instid0(VALU_DEP_3) | instskip(NEXT) | instid1(VALU_DEP_2)
	v_add_f64_e32 v[40:41], v[40:41], v[50:51]
	v_add_f64_e32 v[36:37], v[48:49], v[36:37]
	v_fma_f64 v[48:49], v[123:124], s[30:31], -v[149:150]
	s_delay_alu instid0(VALU_DEP_1) | instskip(SKIP_1) | instid1(VALU_DEP_1)
	v_add_f64_e32 v[40:41], v[48:49], v[40:41]
	v_fma_f64 v[48:49], v[135:136], s[0:1], -v[151:152]
	v_add_f64_e32 v[36:37], v[48:49], v[36:37]
	v_fma_f64 v[48:49], v[135:136], s[14:15], -v[153:154]
	s_delay_alu instid0(VALU_DEP_1) | instskip(SKIP_1) | instid1(VALU_DEP_1)
	v_add_f64_e32 v[40:41], v[48:49], v[40:41]
	v_fma_f64 v[48:49], v[42:43], s[14:15], -v[155:156]
	;; [unrolled: 5-line block ×12, first 2 shown]
	v_add_f64_e32 v[38:39], v[48:49], v[38:39]
	v_fma_f64 v[48:49], v[71:72], s[12:13], -v[147:148]
	s_delay_alu instid0(VALU_DEP_1) | instskip(SKIP_4) | instid1(VALU_DEP_2)
	v_add_f64_e32 v[46:47], v[48:49], v[46:47]
	ds_store_2addr_b64 v70, v[40:41], v[36:37] offset0:12 offset1:13
	ds_store_2addr_b64 v70, v[46:47], v[38:39] offset0:14 offset1:15
	v_fma_f64 v[36:37], v[115:116], s[30:31], -v[73:74]
	v_fma_f64 v[38:39], v[123:124], s[14:15], -v[79:80]
	v_add_f64_e32 v[34:35], v[36:37], v[34:35]
	v_fma_f64 v[36:37], v[135:136], s[16:17], -v[93:94]
	s_delay_alu instid0(VALU_DEP_2) | instskip(SKIP_1) | instid1(VALU_DEP_2)
	v_add_f64_e32 v[34:35], v[38:39], v[34:35]
	v_fma_f64 v[38:39], v[42:43], s[22:23], -v[99:100]
	v_add_f64_e32 v[34:35], v[36:37], v[34:35]
	v_fma_f64 v[36:37], v[44:45], s[24:25], -v[108:109]
	s_delay_alu instid0(VALU_DEP_2) | instskip(NEXT) | instid1(VALU_DEP_1)
	v_add_f64_e32 v[34:35], v[38:39], v[34:35]
	v_add_f64_e32 v[34:35], v[36:37], v[34:35]
	v_fma_f64 v[36:37], v[52:53], s[12:13], -v[119:120]
	s_delay_alu instid0(VALU_DEP_1) | instskip(SKIP_1) | instid1(VALU_DEP_1)
	v_add_f64_e32 v[34:35], v[36:37], v[34:35]
	v_fma_f64 v[36:37], v[71:72], s[6:7], -v[127:128]
	v_add_f64_e32 v[34:35], v[36:37], v[34:35]
	ds_store_b64 v70, v[34:35] offset:128
	global_wb scope:SCOPE_SE
	s_wait_dscnt 0x0
	s_barrier_signal -1
	s_barrier_wait -1
	global_inv scope:SCOPE_SE
	s_and_saveexec_b32 s33, vcc_lo
	s_cbranch_execz .LBB0_12
; %bb.11:
	v_dual_mov_b32 v35, 0 :: v_dual_lshlrev_b32 v34, 4, v140
	v_add_nc_u32_e32 v86, 0x77, v204
	s_delay_alu instid0(VALU_DEP_2) | instskip(NEXT) | instid1(VALU_DEP_1)
	v_lshlrev_b64_e32 v[34:35], 4, v[34:35]
	v_add_co_u32 v78, vcc_lo, s4, v34
	s_wait_alu 0xfffd
	s_delay_alu instid0(VALU_DEP_2)
	v_add_co_ci_u32_e32 v79, vcc_lo, s5, v35, vcc_lo
	v_add_co_u32 v138, vcc_lo, s10, v68
	s_clause 0x1
	global_load_b128 v[36:39], v[78:79], off offset:112
	global_load_b128 v[40:43], v[78:79], off offset:96
	ds_load_2addr_b64 v[44:47], v66 offset0:119 offset1:136
	s_wait_alu 0xfffd
	v_add_co_ci_u32_e32 v139, vcc_lo, s11, v69, vcc_lo
	s_wait_loadcnt 0x1
	v_mul_f64_e32 v[34:35], v[30:31], v[38:39]
	s_wait_dscnt 0x0
	v_mul_f64_e32 v[38:39], v[46:47], v[38:39]
	s_delay_alu instid0(VALU_DEP_2) | instskip(NEXT) | instid1(VALU_DEP_2)
	v_fma_f64 v[34:35], v[46:47], v[36:37], v[34:35]
	v_fma_f64 v[30:31], v[30:31], v[36:37], -v[38:39]
	s_wait_loadcnt 0x0
	v_mul_f64_e32 v[36:37], v[28:29], v[42:43]
	v_mul_f64_e32 v[38:39], v[44:45], v[42:43]
	s_delay_alu instid0(VALU_DEP_2) | instskip(NEXT) | instid1(VALU_DEP_2)
	v_fma_f64 v[36:37], v[44:45], v[40:41], v[36:37]
	v_fma_f64 v[28:29], v[28:29], v[40:41], -v[38:39]
	s_clause 0x1
	global_load_b128 v[40:43], v[78:79], off offset:128
	global_load_b128 v[44:47], v[78:79], off offset:144
	ds_load_2addr_b64 v[48:51], v66 offset0:153 offset1:170
	s_wait_loadcnt 0x1
	v_mul_f64_e32 v[38:39], v[24:25], v[42:43]
	s_wait_dscnt 0x0
	v_mul_f64_e32 v[42:43], v[48:49], v[42:43]
	s_delay_alu instid0(VALU_DEP_2) | instskip(NEXT) | instid1(VALU_DEP_2)
	v_fma_f64 v[38:39], v[48:49], v[40:41], v[38:39]
	v_fma_f64 v[40:41], v[24:25], v[40:41], -v[42:43]
	s_wait_loadcnt 0x0
	v_mul_f64_e32 v[24:25], v[26:27], v[46:47]
	v_mul_f64_e32 v[42:43], v[50:51], v[46:47]
	s_delay_alu instid0(VALU_DEP_4) | instskip(NEXT) | instid1(VALU_DEP_4)
	v_add_f64_e64 v[140:141], v[34:35], -v[38:39]
	v_add_f64_e64 v[68:69], v[30:31], -v[40:41]
	s_delay_alu instid0(VALU_DEP_4) | instskip(NEXT) | instid1(VALU_DEP_4)
	v_fma_f64 v[24:25], v[50:51], v[44:45], v[24:25]
	v_fma_f64 v[26:27], v[26:27], v[44:45], -v[42:43]
	s_clause 0x1
	global_load_b128 v[44:47], v[78:79], off offset:80
	global_load_b128 v[48:51], v[78:79], off offset:64
	ds_load_2addr_b64 v[52:55], v66 offset0:85 offset1:102
	v_mul_f64_e32 v[116:117], s[44:45], v[140:141]
	v_mul_f64_e32 v[174:175], s[48:49], v[140:141]
	;; [unrolled: 1-line block ×3, first 2 shown]
	s_wait_loadcnt 0x1
	v_mul_f64_e32 v[42:43], v[22:23], v[46:47]
	s_wait_dscnt 0x0
	v_mul_f64_e32 v[46:47], v[54:55], v[46:47]
	s_delay_alu instid0(VALU_DEP_2) | instskip(NEXT) | instid1(VALU_DEP_2)
	v_fma_f64 v[42:43], v[54:55], v[44:45], v[42:43]
	v_fma_f64 v[22:23], v[22:23], v[44:45], -v[46:47]
	s_wait_loadcnt 0x0
	v_mul_f64_e32 v[44:45], v[20:21], v[50:51]
	v_mul_f64_e32 v[46:47], v[52:53], v[50:51]
	s_delay_alu instid0(VALU_DEP_2) | instskip(NEXT) | instid1(VALU_DEP_2)
	v_fma_f64 v[44:45], v[52:53], v[48:49], v[44:45]
	v_fma_f64 v[20:21], v[20:21], v[48:49], -v[46:47]
	s_clause 0x1
	global_load_b128 v[48:51], v[78:79], off offset:160
	global_load_b128 v[52:55], v[78:79], off offset:176
	ds_load_2addr_b64 v[56:59], v66 offset0:187 offset1:204
	s_wait_loadcnt 0x1
	v_mul_f64_e32 v[46:47], v[16:17], v[50:51]
	s_wait_dscnt 0x0
	v_mul_f64_e32 v[50:51], v[56:57], v[50:51]
	s_delay_alu instid0(VALU_DEP_2) | instskip(NEXT) | instid1(VALU_DEP_2)
	v_fma_f64 v[46:47], v[56:57], v[48:49], v[46:47]
	v_fma_f64 v[50:51], v[16:17], v[48:49], -v[50:51]
	s_wait_loadcnt 0x0
	v_mul_f64_e32 v[16:17], v[18:19], v[54:55]
	s_delay_alu instid0(VALU_DEP_3) | instskip(NEXT) | instid1(VALU_DEP_2)
	v_add_f64_e32 v[90:91], v[42:43], v[46:47]
	v_fma_f64 v[48:49], v[58:59], v[52:53], v[16:17]
	v_mul_f64_e32 v[16:17], v[58:59], v[54:55]
	s_clause 0x1
	global_load_b128 v[54:57], v[78:79], off offset:48
	global_load_b128 v[58:61], v[78:79], off offset:32
	ds_load_2addr_b64 v[62:65], v66 offset0:51 offset1:68
	v_mul_f64_e32 v[126:127], s[0:1], v[90:91]
	v_mul_f64_e32 v[164:165], s[12:13], v[90:91]
	v_add_f64_e32 v[94:95], v[44:45], v[48:49]
	v_fma_f64 v[18:19], v[18:19], v[52:53], -v[16:17]
	v_add_f64_e64 v[92:93], v[44:45], -v[48:49]
	v_mul_f64_e32 v[192:193], s[16:17], v[90:91]
	v_mul_f64_e32 v[220:221], s[30:31], v[90:91]
	;; [unrolled: 1-line block ×13, first 2 shown]
	s_wait_loadcnt 0x1
	v_mul_f64_e32 v[16:17], v[14:15], v[56:57]
	s_wait_dscnt 0x0
	s_delay_alu instid0(VALU_DEP_1) | instskip(SKIP_1) | instid1(VALU_DEP_1)
	v_fma_f64 v[52:53], v[64:65], v[54:55], v[16:17]
	v_mul_f64_e32 v[16:17], v[64:65], v[56:57]
	v_fma_f64 v[14:15], v[14:15], v[54:55], -v[16:17]
	s_wait_loadcnt 0x0
	v_mul_f64_e32 v[16:17], v[12:13], v[60:61]
	s_delay_alu instid0(VALU_DEP_1) | instskip(SKIP_1) | instid1(VALU_DEP_1)
	v_fma_f64 v[54:55], v[62:63], v[58:59], v[16:17]
	v_mul_f64_e32 v[16:17], v[62:63], v[60:61]
	v_fma_f64 v[12:13], v[12:13], v[58:59], -v[16:17]
	s_clause 0x1
	global_load_b128 v[58:61], v[78:79], off offset:192
	global_load_b128 v[62:65], v[78:79], off offset:208
	ds_load_2addr_b64 v[70:73], v66 offset0:221 offset1:238
	s_wait_loadcnt 0x1
	v_mul_f64_e32 v[16:17], v[8:9], v[60:61]
	s_wait_dscnt 0x0
	s_delay_alu instid0(VALU_DEP_1) | instskip(SKIP_1) | instid1(VALU_DEP_2)
	v_fma_f64 v[56:57], v[70:71], v[58:59], v[16:17]
	v_mul_f64_e32 v[16:17], v[70:71], v[60:61]
	v_add_f64_e32 v[98:99], v[52:53], v[56:57]
	s_delay_alu instid0(VALU_DEP_2) | instskip(SKIP_3) | instid1(VALU_DEP_4)
	v_fma_f64 v[58:59], v[8:9], v[58:59], -v[16:17]
	s_wait_loadcnt 0x0
	v_mul_f64_e32 v[8:9], v[10:11], v[64:65]
	v_add_f64_e64 v[96:97], v[52:53], -v[56:57]
	v_mul_f64_e32 v[134:135], s[22:23], v[98:99]
	v_mul_f64_e32 v[156:157], s[0:1], v[98:99]
	s_delay_alu instid0(VALU_DEP_4)
	v_fma_f64 v[82:83], v[72:73], v[62:63], v[8:9]
	v_mul_f64_e32 v[8:9], v[72:73], v[64:65]
	v_mul_f64_e32 v[84:85], s[50:51], v[96:97]
	;; [unrolled: 1-line block ×10, first 2 shown]
	v_add_f64_e32 v[102:103], v[54:55], v[82:83]
	v_fma_f64 v[10:11], v[10:11], v[62:63], -v[8:9]
	s_clause 0x1
	global_load_b128 v[62:65], v[78:79], off offset:16
	global_load_b128 v[70:73], v[78:79], off
	ds_load_2addr_b64 v[74:77], v66 offset0:17 offset1:34
	v_add_f64_e64 v[100:101], v[54:55], -v[82:83]
	v_mul_f64_e32 v[150:151], s[22:23], v[102:103]
	v_mul_f64_e32 v[178:179], s[30:31], v[102:103]
	;; [unrolled: 1-line block ×9, first 2 shown]
	s_wait_loadcnt 0x1
	v_mul_f64_e32 v[8:9], v[6:7], v[64:65]
	s_wait_dscnt 0x0
	s_delay_alu instid0(VALU_DEP_1) | instskip(SKIP_1) | instid1(VALU_DEP_1)
	v_fma_f64 v[60:61], v[76:77], v[62:63], v[8:9]
	v_mul_f64_e32 v[8:9], v[76:77], v[64:65]
	v_fma_f64 v[6:7], v[6:7], v[62:63], -v[8:9]
	s_wait_loadcnt 0x0
	v_mul_f64_e32 v[8:9], v[4:5], v[72:73]
	s_delay_alu instid0(VALU_DEP_1) | instskip(SKIP_1) | instid1(VALU_DEP_1)
	v_fma_f64 v[62:63], v[74:75], v[70:71], v[8:9]
	v_mul_f64_e32 v[8:9], v[74:75], v[72:73]
	v_fma_f64 v[4:5], v[4:5], v[70:71], -v[8:9]
	s_clause 0x1
	global_load_b128 v[70:73], v[78:79], off offset:224
	global_load_b128 v[74:77], v[78:79], off offset:240
	ds_load_2addr_b64 v[78:81], v33 offset0:127 offset1:144
	ds_load_b64 v[16:17], v32
	s_wait_loadcnt 0x1
	v_mul_f64_e32 v[8:9], v[0:1], v[72:73]
	s_wait_dscnt 0x1
	s_delay_alu instid0(VALU_DEP_1) | instskip(SKIP_2) | instid1(VALU_DEP_3)
	v_fma_f64 v[64:65], v[78:79], v[70:71], v[8:9]
	v_mul_f64_e32 v[8:9], v[78:79], v[72:73]
	v_add_f64_e32 v[78:79], v[36:37], v[24:25]
	v_add_f64_e32 v[142:143], v[60:61], v[64:65]
	s_delay_alu instid0(VALU_DEP_3)
	v_fma_f64 v[70:71], v[0:1], v[70:71], -v[8:9]
	s_wait_loadcnt 0x0
	v_mul_f64_e32 v[0:1], v[2:3], v[76:77]
	v_add_f64_e64 v[104:105], v[60:61], -v[64:65]
	v_mul_f64_e32 v[122:123], s[16:17], v[78:79]
	v_mul_f64_e32 v[168:169], s[24:25], v[78:79]
	;; [unrolled: 1-line block ×6, first 2 shown]
	v_fma_f64 v[66:67], v[80:81], v[74:75], v[0:1]
	v_mul_f64_e32 v[0:1], v[80:81], v[76:77]
	v_add_f64_e64 v[80:81], v[42:43], -v[46:47]
	v_mul_f64_e32 v[112:113], s[54:55], v[104:105]
	v_mul_f64_e32 v[88:89], s[52:53], v[104:105]
	;; [unrolled: 1-line block ×6, first 2 shown]
	v_add_f64_e32 v[200:201], v[62:63], v[66:67]
	v_fma_f64 v[72:73], v[2:3], v[74:75], -v[0:1]
	s_wait_dscnt 0x0
	v_add_f64_e32 v[0:1], v[16:17], v[62:63]
	v_add_f64_e32 v[2:3], v[106:107], v[4:5]
	v_add_f64_e64 v[74:75], v[6:7], -v[70:71]
	v_add_f64_e64 v[202:203], v[62:63], -v[66:67]
	v_mul_f64_e32 v[62:63], s[24:25], v[142:143]
	v_mul_f64_e32 v[124:125], s[2:3], v[80:81]
	;; [unrolled: 1-line block ×7, first 2 shown]
	v_add_f64_e64 v[76:77], v[4:5], -v[72:73]
	v_add_f64_e32 v[0:1], v[60:61], v[0:1]
	v_add_f64_e32 v[2:3], v[6:7], v[2:3]
	v_mul_f64_e32 v[146:147], s[14:15], v[200:201]
	v_mul_f64_e32 v[114:115], s[36:37], v[202:203]
	;; [unrolled: 1-line block ×8, first 2 shown]
	v_add_f64_e32 v[0:1], v[54:55], v[0:1]
	v_add_f64_e32 v[2:3], v[12:13], v[2:3]
	v_mul_f64_e32 v[54:55], s[22:23], v[200:201]
	s_delay_alu instid0(VALU_DEP_3) | instskip(NEXT) | instid1(VALU_DEP_3)
	v_add_f64_e32 v[0:1], v[52:53], v[0:1]
	v_add_f64_e32 v[2:3], v[14:15], v[2:3]
	v_mul_f64_e32 v[52:53], s[12:13], v[142:143]
	s_delay_alu instid0(VALU_DEP_3) | instskip(NEXT) | instid1(VALU_DEP_3)
	;; [unrolled: 4-line block ×4, first 2 shown]
	v_add_f64_e32 v[0:1], v[36:37], v[0:1]
	v_add_f64_e32 v[2:3], v[28:29], v[2:3]
	s_delay_alu instid0(VALU_DEP_2) | instskip(NEXT) | instid1(VALU_DEP_2)
	v_add_f64_e32 v[0:1], v[34:35], v[0:1]
	v_add_f64_e32 v[2:3], v[30:31], v[2:3]
	;; [unrolled: 1-line block ×3, first 2 shown]
	s_delay_alu instid0(VALU_DEP_3) | instskip(NEXT) | instid1(VALU_DEP_3)
	v_add_f64_e32 v[0:1], v[38:39], v[0:1]
	v_add_f64_e32 v[2:3], v[40:41], v[2:3]
	;; [unrolled: 1-line block ×3, first 2 shown]
	s_delay_alu instid0(VALU_DEP_3) | instskip(NEXT) | instid1(VALU_DEP_3)
	v_add_f64_e32 v[0:1], v[24:25], v[0:1]
	v_add_f64_e32 v[2:3], v[26:27], v[2:3]
	s_delay_alu instid0(VALU_DEP_2) | instskip(NEXT) | instid1(VALU_DEP_2)
	v_add_f64_e32 v[0:1], v[46:47], v[0:1]
	v_add_f64_e32 v[2:3], v[50:51], v[2:3]
	v_add_f64_e64 v[46:47], v[12:13], -v[10:11]
	s_delay_alu instid0(VALU_DEP_3) | instskip(NEXT) | instid1(VALU_DEP_3)
	v_add_f64_e32 v[0:1], v[48:49], v[0:1]
	v_add_f64_e32 v[2:3], v[18:19], v[2:3]
	v_mul_f64_e32 v[48:49], s[52:53], v[140:141]
	s_delay_alu instid0(VALU_DEP_3) | instskip(NEXT) | instid1(VALU_DEP_3)
	v_add_f64_e32 v[0:1], v[56:57], v[0:1]
	v_add_f64_e32 v[2:3], v[58:59], v[2:3]
	v_mul_f64_e32 v[56:57], s[6:7], v[142:143]
	;; [unrolled: 4-line block ×4, first 2 shown]
	s_delay_alu instid0(VALU_DEP_3) | instskip(NEXT) | instid1(VALU_DEP_3)
	v_add_f64_e32 v[2:3], v[66:67], v[0:1]
	v_add_f64_e32 v[0:1], v[72:73], v[8:9]
	v_mad_co_u64_u32 v[8:9], null, s8, v204, 0
	v_mul_f64_e32 v[66:67], s[24:25], v[102:103]
	s_delay_alu instid0(VALU_DEP_2) | instskip(NEXT) | instid1(VALU_DEP_1)
	v_mad_co_u64_u32 v[32:33], null, s9, v204, v[9:10]
	v_mov_b32_e32 v9, v32
	v_add_f64_e64 v[32:33], v[36:37], -v[24:25]
	v_add_f64_e64 v[36:37], v[14:15], -v[58:59]
	;; [unrolled: 1-line block ×3, first 2 shown]
	v_add_f64_e32 v[22:23], v[22:23], v[50:51]
	v_lshlrev_b64_e32 v[8:9], 4, v[8:9]
	s_delay_alu instid0(VALU_DEP_1) | instskip(SKIP_1) | instid1(VALU_DEP_2)
	v_add_co_u32 v8, vcc_lo, v138, v8
	s_wait_alu 0xfffd
	v_add_co_ci_u32_e32 v9, vcc_lo, v139, v9, vcc_lo
	global_store_b128 v[8:9], v[0:3], off
	v_mul_f64_e32 v[0:1], s[0:1], v[200:201]
	v_add_f64_e32 v[8:9], v[34:35], v[38:39]
	v_add_f64_e64 v[34:35], v[28:29], -v[26:27]
	v_add_f64_e32 v[26:27], v[28:29], v[26:27]
	v_add_f64_e64 v[28:29], v[20:21], -v[18:19]
	v_add_f64_e32 v[18:19], v[20:21], v[18:19]
	v_add_f64_e32 v[20:21], v[14:15], v[58:59]
	;; [unrolled: 1-line block ×4, first 2 shown]
	v_mul_f64_e32 v[2:3], s[30:31], v[142:143]
	v_mul_f64_e32 v[4:5], s[36:37], v[104:105]
	;; [unrolled: 1-line block ×11, first 2 shown]
	scratch_store_b64 off, v[0:1], off offset:104 ; 8-byte Folded Spill
	v_fma_f64 v[0:1], v[76:77], s[2:3], v[0:1]
	v_mul_f64_e32 v[118:119], s[12:13], v[8:9]
	v_mul_f64_e32 v[172:173], s[30:31], v[8:9]
	;; [unrolled: 1-line block ×5, first 2 shown]
	s_clause 0x1
	scratch_store_b64 off, v[2:3], off offset:96
	scratch_store_b64 off, v[4:5], off offset:112
	v_fma_f64 v[2:3], v[74:75], s[36:37], v[2:3]
	v_fma_f64 v[4:5], v[58:59], s[30:31], -v[4:5]
	v_add_f64_e32 v[0:1], v[16:17], v[0:1]
	s_delay_alu instid0(VALU_DEP_1) | instskip(SKIP_3) | instid1(VALU_DEP_1)
	v_add_f64_e32 v[0:1], v[2:3], v[0:1]
	v_mul_f64_e32 v[2:3], s[2:3], v[202:203]
	scratch_store_b64 off, v[2:3], off offset:120 ; 8-byte Folded Spill
	v_fma_f64 v[2:3], v[70:71], s[0:1], -v[2:3]
	v_add_f64_e32 v[2:3], v[106:107], v[2:3]
	s_delay_alu instid0(VALU_DEP_1) | instskip(SKIP_4) | instid1(VALU_DEP_1)
	v_add_f64_e32 v[2:3], v[4:5], v[2:3]
	v_mul_f64_e32 v[4:5], s[14:15], v[102:103]
	v_mul_f64_e32 v[102:103], s[12:13], v[102:103]
	scratch_store_b64 off, v[4:5], off offset:88 ; 8-byte Folded Spill
	v_fma_f64 v[4:5], v[46:47], s[18:19], v[4:5]
	v_add_f64_e32 v[0:1], v[4:5], v[0:1]
	v_mul_f64_e32 v[4:5], s[18:19], v[100:101]
	v_mul_f64_e32 v[100:101], s[44:45], v[100:101]
	scratch_store_b64 off, v[4:5], off offset:80 ; 8-byte Folded Spill
	v_fma_f64 v[4:5], v[40:41], s[14:15], -v[4:5]
	s_delay_alu instid0(VALU_DEP_1) | instskip(SKIP_4) | instid1(VALU_DEP_1)
	v_add_f64_e32 v[2:3], v[4:5], v[2:3]
	v_mul_f64_e32 v[4:5], s[16:17], v[98:99]
	v_mul_f64_e32 v[98:99], s[30:31], v[98:99]
	scratch_store_b64 off, v[4:5], off offset:72 ; 8-byte Folded Spill
	v_fma_f64 v[4:5], v[36:37], s[54:55], v[4:5]
	v_add_f64_e32 v[0:1], v[4:5], v[0:1]
	v_mul_f64_e32 v[4:5], s[54:55], v[96:97]
	v_mul_f64_e32 v[96:97], s[48:49], v[96:97]
	scratch_store_b64 off, v[4:5], off offset:64 ; 8-byte Folded Spill
	v_fma_f64 v[4:5], v[20:21], s[16:17], -v[4:5]
	s_delay_alu instid0(VALU_DEP_1) | instskip(SKIP_3) | instid1(VALU_DEP_1)
	v_add_f64_e32 v[2:3], v[4:5], v[2:3]
	v_mul_f64_e32 v[4:5], s[22:23], v[94:95]
	scratch_store_b64 off, v[4:5], off offset:56 ; 8-byte Folded Spill
	v_fma_f64 v[4:5], v[28:29], s[38:39], v[4:5]
	v_add_f64_e32 v[0:1], v[4:5], v[0:1]
	v_mul_f64_e32 v[4:5], s[38:39], v[92:93]
	scratch_store_b64 off, v[4:5], off offset:48 ; 8-byte Folded Spill
	v_fma_f64 v[4:5], v[18:19], s[22:23], -v[4:5]
	s_delay_alu instid0(VALU_DEP_1) | instskip(SKIP_3) | instid1(VALU_DEP_1)
	v_add_f64_e32 v[2:3], v[4:5], v[2:3]
	v_mul_f64_e32 v[4:5], s[24:25], v[90:91]
	scratch_store_b64 off, v[4:5], off offset:40 ; 8-byte Folded Spill
	v_fma_f64 v[4:5], v[24:25], s[52:53], v[4:5]
	v_add_f64_e32 v[0:1], v[4:5], v[0:1]
	;; [unrolled: 9-line block ×4, first 2 shown]
	v_mul_f64_e32 v[0:1], s[50:51], v[140:141]
	scratch_store_b64 off, v[0:1], off      ; 8-byte Folded Spill
	v_fma_f64 v[0:1], v[30:31], s[6:7], -v[0:1]
	s_delay_alu instid0(VALU_DEP_1) | instskip(SKIP_1) | instid1(VALU_DEP_1)
	v_add_f64_e32 v[4:5], v[0:1], v[2:3]
	v_add_nc_u32_e32 v2, 17, v204
	v_mad_co_u64_u32 v[0:1], null, s8, v2, 0
	s_delay_alu instid0(VALU_DEP_1) | instskip(SKIP_1) | instid1(VALU_DEP_2)
	v_mad_co_u64_u32 v[1:2], null, s9, v2, v[1:2]
	v_fma_f64 v[2:3], v[74:75], s[54:55], v[108:109]
	v_lshlrev_b64_e32 v[0:1], 4, v[0:1]
	s_delay_alu instid0(VALU_DEP_1) | instskip(SKIP_1) | instid1(VALU_DEP_2)
	v_add_co_u32 v0, vcc_lo, v138, v0
	s_wait_alu 0xfffd
	v_add_co_ci_u32_e32 v1, vcc_lo, v139, v1, vcc_lo
	global_store_b128 v[0:1], v[4:7], off
	v_fma_f64 v[0:1], v[76:77], s[36:37], v[110:111]
	v_fma_f64 v[4:5], v[58:59], s[16:17], -v[112:113]
	s_delay_alu instid0(VALU_DEP_2) | instskip(NEXT) | instid1(VALU_DEP_1)
	v_add_f64_e32 v[0:1], v[16:17], v[0:1]
	v_add_f64_e32 v[0:1], v[2:3], v[0:1]
	v_fma_f64 v[2:3], v[70:71], s[30:31], -v[114:115]
	s_delay_alu instid0(VALU_DEP_1) | instskip(NEXT) | instid1(VALU_DEP_1)
	v_add_f64_e32 v[2:3], v[106:107], v[2:3]
	v_add_f64_e32 v[2:3], v[4:5], v[2:3]
	v_fma_f64 v[4:5], v[46:47], s[52:53], v[66:67]
	s_delay_alu instid0(VALU_DEP_1) | instskip(SKIP_1) | instid1(VALU_DEP_1)
	v_add_f64_e32 v[0:1], v[4:5], v[0:1]
	v_fma_f64 v[4:5], v[40:41], s[24:25], -v[72:73]
	v_add_f64_e32 v[2:3], v[4:5], v[2:3]
	v_fma_f64 v[4:5], v[36:37], s[50:51], v[82:83]
	s_delay_alu instid0(VALU_DEP_1) | instskip(SKIP_1) | instid1(VALU_DEP_1)
	v_add_f64_e32 v[0:1], v[4:5], v[0:1]
	v_fma_f64 v[4:5], v[20:21], s[6:7], -v[84:85]
	v_add_f64_e32 v[2:3], v[4:5], v[2:3]
	v_mul_f64_e32 v[4:5], s[12:13], v[94:95]
	v_mul_f64_e32 v[94:95], s[24:25], v[94:95]
	scratch_store_b64 off, v[4:5], off offset:184 ; 8-byte Folded Spill
	v_fma_f64 v[4:5], v[28:29], s[26:27], v[4:5]
	s_delay_alu instid0(VALU_DEP_1) | instskip(SKIP_4) | instid1(VALU_DEP_1)
	v_add_f64_e32 v[0:1], v[4:5], v[0:1]
	v_mul_f64_e32 v[4:5], s[26:27], v[92:93]
	v_mul_f64_e32 v[92:93], s[52:53], v[92:93]
	scratch_store_b64 off, v[4:5], off offset:176 ; 8-byte Folded Spill
	v_fma_f64 v[4:5], v[18:19], s[12:13], -v[4:5]
	v_add_f64_e32 v[2:3], v[4:5], v[2:3]
	v_mul_f64_e32 v[4:5], s[22:23], v[90:91]
	v_mul_f64_e32 v[90:91], s[14:15], v[90:91]
	scratch_store_b64 off, v[4:5], off offset:168 ; 8-byte Folded Spill
	v_fma_f64 v[4:5], v[24:25], s[42:43], v[4:5]
	s_delay_alu instid0(VALU_DEP_1) | instskip(SKIP_4) | instid1(VALU_DEP_1)
	v_add_f64_e32 v[0:1], v[4:5], v[0:1]
	v_mul_f64_e32 v[4:5], s[42:43], v[80:81]
	v_mul_f64_e32 v[80:81], s[46:47], v[80:81]
	scratch_store_b64 off, v[4:5], off offset:160 ; 8-byte Folded Spill
	;; [unrolled: 11-line block ×3, first 2 shown]
	v_fma_f64 v[4:5], v[26:27], s[14:15], -v[4:5]
	v_add_f64_e32 v[2:3], v[4:5], v[2:3]
	v_mul_f64_e32 v[4:5], s[0:1], v[8:9]
	v_mul_f64_e32 v[8:9], s[16:17], v[8:9]
	scratch_store_b64 off, v[4:5], off offset:136 ; 8-byte Folded Spill
	v_fma_f64 v[4:5], v[68:69], s[20:21], v[4:5]
	s_delay_alu instid0(VALU_DEP_1) | instskip(SKIP_3) | instid1(VALU_DEP_1)
	v_add_f64_e32 v[6:7], v[4:5], v[0:1]
	v_mul_f64_e32 v[0:1], s[20:21], v[140:141]
	scratch_store_b64 off, v[0:1], off offset:128 ; 8-byte Folded Spill
	v_fma_f64 v[0:1], v[30:31], s[0:1], -v[0:1]
	v_add_f64_e32 v[4:5], v[0:1], v[2:3]
	v_add_nc_u32_e32 v2, 34, v204
	s_delay_alu instid0(VALU_DEP_1) | instskip(NEXT) | instid1(VALU_DEP_1)
	v_mad_co_u64_u32 v[0:1], null, s8, v2, 0
	v_mad_co_u64_u32 v[1:2], null, s9, v2, v[1:2]
	v_fma_f64 v[2:3], v[74:75], s[52:53], v[62:63]
	s_delay_alu instid0(VALU_DEP_2) | instskip(NEXT) | instid1(VALU_DEP_1)
	v_lshlrev_b64_e32 v[0:1], 4, v[0:1]
	v_add_co_u32 v0, vcc_lo, v138, v0
	s_wait_alu 0xfffd
	s_delay_alu instid0(VALU_DEP_2) | instskip(SKIP_3) | instid1(VALU_DEP_2)
	v_add_co_ci_u32_e32 v1, vcc_lo, v139, v1, vcc_lo
	global_store_b128 v[0:1], v[4:7], off
	v_fma_f64 v[0:1], v[76:77], s[18:19], v[146:147]
	v_fma_f64 v[4:5], v[58:59], s[24:25], -v[88:89]
	v_add_f64_e32 v[0:1], v[16:17], v[0:1]
	s_delay_alu instid0(VALU_DEP_1) | instskip(SKIP_1) | instid1(VALU_DEP_1)
	v_add_f64_e32 v[0:1], v[2:3], v[0:1]
	v_fma_f64 v[2:3], v[70:71], s[14:15], -v[144:145]
	v_add_f64_e32 v[2:3], v[106:107], v[2:3]
	s_delay_alu instid0(VALU_DEP_1) | instskip(SKIP_1) | instid1(VALU_DEP_1)
	v_add_f64_e32 v[2:3], v[4:5], v[2:3]
	v_fma_f64 v[4:5], v[46:47], s[28:29], v[64:65]
	v_add_f64_e32 v[0:1], v[4:5], v[0:1]
	v_fma_f64 v[4:5], v[40:41], s[6:7], -v[136:137]
	s_delay_alu instid0(VALU_DEP_1) | instskip(SKIP_1) | instid1(VALU_DEP_1)
	v_add_f64_e32 v[2:3], v[4:5], v[2:3]
	v_fma_f64 v[4:5], v[36:37], s[42:43], v[134:135]
	v_add_f64_e32 v[0:1], v[4:5], v[0:1]
	v_fma_f64 v[4:5], v[20:21], s[22:23], -v[132:133]
	;; [unrolled: 5-line block ×6, first 2 shown]
	s_delay_alu instid0(VALU_DEP_1) | instskip(SKIP_1) | instid1(VALU_DEP_1)
	v_add_f64_e32 v[4:5], v[0:1], v[2:3]
	v_add_nc_u32_e32 v2, 51, v204
	v_mad_co_u64_u32 v[0:1], null, s8, v2, 0
	s_delay_alu instid0(VALU_DEP_1) | instskip(SKIP_1) | instid1(VALU_DEP_2)
	v_mad_co_u64_u32 v[1:2], null, s9, v2, v[1:2]
	v_fma_f64 v[2:3], v[74:75], s[50:51], v[56:57]
	v_lshlrev_b64_e32 v[0:1], 4, v[0:1]
	s_delay_alu instid0(VALU_DEP_1) | instskip(SKIP_1) | instid1(VALU_DEP_2)
	v_add_co_u32 v0, vcc_lo, v138, v0
	s_wait_alu 0xfffd
	v_add_co_ci_u32_e32 v1, vcc_lo, v139, v1, vcc_lo
	global_store_b128 v[0:1], v[4:7], off
	v_fma_f64 v[0:1], v[76:77], s[54:55], v[60:61]
	v_fma_f64 v[4:5], v[58:59], s[6:7], -v[152:153]
	s_delay_alu instid0(VALU_DEP_2) | instskip(NEXT) | instid1(VALU_DEP_1)
	v_add_f64_e32 v[0:1], v[16:17], v[0:1]
	v_add_f64_e32 v[0:1], v[2:3], v[0:1]
	v_fma_f64 v[2:3], v[70:71], s[16:17], -v[148:149]
	s_delay_alu instid0(VALU_DEP_1) | instskip(NEXT) | instid1(VALU_DEP_1)
	v_add_f64_e32 v[2:3], v[106:107], v[2:3]
	v_add_f64_e32 v[2:3], v[4:5], v[2:3]
	v_fma_f64 v[4:5], v[46:47], s[42:43], v[150:151]
	s_delay_alu instid0(VALU_DEP_1) | instskip(SKIP_1) | instid1(VALU_DEP_1)
	v_add_f64_e32 v[0:1], v[4:5], v[0:1]
	v_fma_f64 v[4:5], v[40:41], s[22:23], -v[154:155]
	v_add_f64_e32 v[2:3], v[4:5], v[2:3]
	v_fma_f64 v[4:5], v[36:37], s[20:21], v[156:157]
	s_delay_alu instid0(VALU_DEP_1) | instskip(SKIP_1) | instid1(VALU_DEP_1)
	v_add_f64_e32 v[0:1], v[4:5], v[0:1]
	v_fma_f64 v[4:5], v[20:21], s[0:1], -v[158:159]
	;; [unrolled: 5-line block ×6, first 2 shown]
	v_add_f64_e32 v[4:5], v[0:1], v[2:3]
	v_add_nc_u32_e32 v2, 0x44, v204
	s_delay_alu instid0(VALU_DEP_1) | instskip(NEXT) | instid1(VALU_DEP_1)
	v_mad_co_u64_u32 v[0:1], null, s8, v2, 0
	v_mad_co_u64_u32 v[1:2], null, s9, v2, v[1:2]
	v_fma_f64 v[2:3], v[74:75], s[26:27], v[52:53]
	s_delay_alu instid0(VALU_DEP_2) | instskip(NEXT) | instid1(VALU_DEP_1)
	v_lshlrev_b64_e32 v[0:1], 4, v[0:1]
	v_add_co_u32 v0, vcc_lo, v138, v0
	s_wait_alu 0xfffd
	s_delay_alu instid0(VALU_DEP_2) | instskip(SKIP_3) | instid1(VALU_DEP_2)
	v_add_co_ci_u32_e32 v1, vcc_lo, v139, v1, vcc_lo
	global_store_b128 v[0:1], v[4:7], off
	v_fma_f64 v[0:1], v[76:77], s[38:39], v[54:55]
	v_fma_f64 v[4:5], v[58:59], s[12:13], -v[180:181]
	v_add_f64_e32 v[0:1], v[16:17], v[0:1]
	s_delay_alu instid0(VALU_DEP_1) | instskip(SKIP_1) | instid1(VALU_DEP_1)
	v_add_f64_e32 v[0:1], v[2:3], v[0:1]
	v_fma_f64 v[2:3], v[70:71], s[22:23], -v[176:177]
	v_add_f64_e32 v[2:3], v[106:107], v[2:3]
	s_delay_alu instid0(VALU_DEP_1) | instskip(SKIP_1) | instid1(VALU_DEP_1)
	v_add_f64_e32 v[2:3], v[4:5], v[2:3]
	v_fma_f64 v[4:5], v[46:47], s[48:49], v[178:179]
	v_add_f64_e32 v[0:1], v[4:5], v[0:1]
	v_fma_f64 v[4:5], v[40:41], s[30:31], -v[182:183]
	s_delay_alu instid0(VALU_DEP_1) | instskip(SKIP_1) | instid1(VALU_DEP_1)
	v_add_f64_e32 v[2:3], v[4:5], v[2:3]
	v_fma_f64 v[4:5], v[36:37], s[18:19], v[184:185]
	v_add_f64_e32 v[0:1], v[4:5], v[0:1]
	v_fma_f64 v[4:5], v[20:21], s[14:15], -v[186:187]
	;; [unrolled: 5-line block ×6, first 2 shown]
	s_delay_alu instid0(VALU_DEP_1) | instskip(SKIP_1) | instid1(VALU_DEP_1)
	v_add_f64_e32 v[4:5], v[0:1], v[2:3]
	v_add_nc_u32_e32 v2, 0x55, v204
	v_mad_co_u64_u32 v[0:1], null, s8, v2, 0
	s_delay_alu instid0(VALU_DEP_1) | instskip(SKIP_1) | instid1(VALU_DEP_2)
	v_mad_co_u64_u32 v[1:2], null, s9, v2, v[1:2]
	v_fma_f64 v[2:3], v[74:75], s[42:43], v[42:43]
	v_lshlrev_b64_e32 v[0:1], 4, v[0:1]
	s_delay_alu instid0(VALU_DEP_1) | instskip(SKIP_1) | instid1(VALU_DEP_2)
	v_add_co_u32 v0, vcc_lo, v138, v0
	s_wait_alu 0xfffd
	v_add_co_ci_u32_e32 v1, vcc_lo, v139, v1, vcc_lo
	global_store_b128 v[0:1], v[4:7], off
	v_fma_f64 v[0:1], v[76:77], s[52:53], v[44:45]
	v_fma_f64 v[4:5], v[58:59], s[22:23], -v[208:209]
	s_delay_alu instid0(VALU_DEP_2) | instskip(NEXT) | instid1(VALU_DEP_1)
	v_add_f64_e32 v[0:1], v[16:17], v[0:1]
	v_add_f64_e32 v[0:1], v[2:3], v[0:1]
	v_fma_f64 v[2:3], v[70:71], s[24:25], -v[38:39]
	s_delay_alu instid0(VALU_DEP_1) | instskip(NEXT) | instid1(VALU_DEP_1)
	v_add_f64_e32 v[2:3], v[106:107], v[2:3]
	v_add_f64_e32 v[2:3], v[4:5], v[2:3]
	v_fma_f64 v[4:5], v[46:47], s[2:3], v[206:207]
	s_delay_alu instid0(VALU_DEP_1) | instskip(SKIP_1) | instid1(VALU_DEP_1)
	v_add_f64_e32 v[0:1], v[4:5], v[0:1]
	v_fma_f64 v[4:5], v[40:41], s[0:1], -v[210:211]
	v_add_f64_e32 v[2:3], v[4:5], v[2:3]
	v_fma_f64 v[4:5], v[36:37], s[44:45], v[212:213]
	s_delay_alu instid0(VALU_DEP_1) | instskip(SKIP_1) | instid1(VALU_DEP_1)
	v_add_f64_e32 v[0:1], v[4:5], v[0:1]
	v_fma_f64 v[4:5], v[20:21], s[12:13], -v[214:215]
	;; [unrolled: 5-line block ×6, first 2 shown]
	v_add_f64_e32 v[4:5], v[0:1], v[2:3]
	v_add_nc_u32_e32 v2, 0x66, v204
	s_delay_alu instid0(VALU_DEP_1) | instskip(NEXT) | instid1(VALU_DEP_1)
	v_mad_co_u64_u32 v[0:1], null, s8, v2, 0
	v_mad_co_u64_u32 v[1:2], null, s9, v2, v[1:2]
	v_fma_f64 v[2:3], v[74:75], s[46:47], v[234:235]
	s_delay_alu instid0(VALU_DEP_2) | instskip(NEXT) | instid1(VALU_DEP_1)
	v_lshlrev_b64_e32 v[0:1], 4, v[0:1]
	v_add_co_u32 v0, vcc_lo, v138, v0
	s_wait_alu 0xfffd
	s_delay_alu instid0(VALU_DEP_2)
	v_add_co_ci_u32_e32 v1, vcc_lo, v139, v1, vcc_lo
	global_store_b128 v[0:1], v[4:7], off
	v_fma_f64 v[0:1], v[76:77], s[44:45], v[232:233]
	v_fma_f64 v[4:5], v[58:59], s[14:15], -v[240:241]
	v_mul_f64_e32 v[6:7], s[38:39], v[140:141]
	v_mul_f64_e32 v[140:141], s[34:35], v[140:141]
	s_delay_alu instid0(VALU_DEP_4) | instskip(NEXT) | instid1(VALU_DEP_1)
	v_add_f64_e32 v[0:1], v[16:17], v[0:1]
	v_add_f64_e32 v[0:1], v[2:3], v[0:1]
	v_fma_f64 v[2:3], v[70:71], s[12:13], -v[236:237]
	s_delay_alu instid0(VALU_DEP_1) | instskip(NEXT) | instid1(VALU_DEP_1)
	v_add_f64_e32 v[2:3], v[106:107], v[2:3]
	v_add_f64_e32 v[2:3], v[4:5], v[2:3]
	v_fma_f64 v[4:5], v[46:47], s[54:55], v[238:239]
	s_delay_alu instid0(VALU_DEP_1) | instskip(SKIP_1) | instid1(VALU_DEP_1)
	v_add_f64_e32 v[0:1], v[4:5], v[0:1]
	v_fma_f64 v[4:5], v[40:41], s[16:17], -v[242:243]
	v_add_f64_e32 v[2:3], v[4:5], v[2:3]
	v_fma_f64 v[4:5], v[36:37], s[40:41], v[244:245]
	s_delay_alu instid0(VALU_DEP_1) | instskip(SKIP_1) | instid1(VALU_DEP_1)
	v_add_f64_e32 v[0:1], v[4:5], v[0:1]
	v_fma_f64 v[4:5], v[20:21], s[24:25], -v[246:247]
	;; [unrolled: 5-line block ×6, first 2 shown]
	v_add_f64_e32 v[0:1], v[0:1], v[4:5]
	v_mad_co_u64_u32 v[4:5], null, s8, v86, 0
	s_delay_alu instid0(VALU_DEP_1) | instskip(SKIP_1) | instid1(VALU_DEP_2)
	v_mad_co_u64_u32 v[86:87], null, s9, v86, v[5:6]
	v_fma_f64 v[6:7], v[30:31], s[22:23], v[6:7]
	v_mov_b32_e32 v5, v86
	v_mul_f64_e32 v[86:87], s[0:1], v[142:143]
	v_mul_f64_e32 v[142:143], s[50:51], v[202:203]
	v_add_nc_u32_e32 v202, 0x88, v204
	s_delay_alu instid0(VALU_DEP_4) | instskip(NEXT) | instid1(VALU_DEP_1)
	v_lshlrev_b64_e32 v[4:5], 4, v[4:5]
	v_add_co_u32 v4, vcc_lo, v138, v4
	s_wait_alu 0xfffd
	s_delay_alu instid0(VALU_DEP_2) | instskip(SKIP_4) | instid1(VALU_DEP_3)
	v_add_co_ci_u32_e32 v5, vcc_lo, v139, v5, vcc_lo
	global_store_b128 v[4:5], v[0:3], off
	v_mul_f64_e32 v[4:5], s[6:7], v[200:201]
	v_fma_f64 v[200:201], v[58:59], s[0:1], -v[104:105]
	v_fma_f64 v[2:3], v[74:75], s[20:21], v[86:87]
	v_fma_f64 v[0:1], v[76:77], s[50:51], v[4:5]
	s_delay_alu instid0(VALU_DEP_1) | instskip(NEXT) | instid1(VALU_DEP_1)
	v_add_f64_e32 v[0:1], v[16:17], v[0:1]
	v_add_f64_e32 v[0:1], v[2:3], v[0:1]
	v_fma_f64 v[2:3], v[70:71], s[6:7], -v[142:143]
	s_delay_alu instid0(VALU_DEP_1) | instskip(NEXT) | instid1(VALU_DEP_1)
	v_add_f64_e32 v[2:3], v[106:107], v[2:3]
	v_add_f64_e32 v[2:3], v[200:201], v[2:3]
	v_fma_f64 v[200:201], v[46:47], s[44:45], v[102:103]
	s_delay_alu instid0(VALU_DEP_1) | instskip(SKIP_1) | instid1(VALU_DEP_1)
	v_add_f64_e32 v[0:1], v[200:201], v[0:1]
	v_fma_f64 v[200:201], v[40:41], s[12:13], -v[100:101]
	v_add_f64_e32 v[2:3], v[200:201], v[2:3]
	v_fma_f64 v[200:201], v[36:37], s[48:49], v[98:99]
	s_delay_alu instid0(VALU_DEP_1) | instskip(SKIP_1) | instid1(VALU_DEP_1)
	v_add_f64_e32 v[0:1], v[200:201], v[0:1]
	v_fma_f64 v[200:201], v[20:21], s[30:31], -v[96:97]
	;; [unrolled: 5-line block ×6, first 2 shown]
	v_add_f64_e32 v[0:1], v[0:1], v[200:201]
	v_mad_co_u64_u32 v[200:201], null, s8, v202, 0
	s_delay_alu instid0(VALU_DEP_1) | instskip(NEXT) | instid1(VALU_DEP_1)
	v_mad_co_u64_u32 v[201:202], null, s9, v202, v[201:202]
	v_lshlrev_b64_e32 v[200:201], 4, v[200:201]
	s_delay_alu instid0(VALU_DEP_1) | instskip(SKIP_1) | instid1(VALU_DEP_2)
	v_add_co_u32 v200, vcc_lo, v138, v200
	s_wait_alu 0xfffd
	v_add_co_ci_u32_e32 v201, vcc_lo, v139, v201, vcc_lo
	global_store_b128 v[200:201], v[0:3], off
	v_fma_f64 v[0:1], v[76:77], s[28:29], v[4:5]
	v_fma_f64 v[2:3], v[74:75], s[2:3], v[86:87]
	;; [unrolled: 1-line block ×3, first 2 shown]
	s_delay_alu instid0(VALU_DEP_3) | instskip(NEXT) | instid1(VALU_DEP_1)
	v_add_f64_e32 v[0:1], v[16:17], v[0:1]
	v_add_f64_e32 v[0:1], v[2:3], v[0:1]
	v_fma_f64 v[2:3], v[70:71], s[6:7], v[142:143]
	s_delay_alu instid0(VALU_DEP_1) | instskip(NEXT) | instid1(VALU_DEP_1)
	v_add_f64_e32 v[2:3], v[106:107], v[2:3]
	v_add_f64_e32 v[2:3], v[4:5], v[2:3]
	v_fma_f64 v[4:5], v[46:47], s[26:27], v[102:103]
	s_delay_alu instid0(VALU_DEP_1) | instskip(SKIP_1) | instid1(VALU_DEP_1)
	v_add_f64_e32 v[0:1], v[4:5], v[0:1]
	v_fma_f64 v[4:5], v[40:41], s[12:13], v[100:101]
	v_add_f64_e32 v[2:3], v[4:5], v[2:3]
	v_fma_f64 v[4:5], v[36:37], s[36:37], v[98:99]
	s_delay_alu instid0(VALU_DEP_1) | instskip(SKIP_1) | instid1(VALU_DEP_1)
	v_add_f64_e32 v[0:1], v[4:5], v[0:1]
	v_fma_f64 v[4:5], v[20:21], s[30:31], v[96:97]
	;; [unrolled: 5-line block ×5, first 2 shown]
	v_add_f64_e32 v[4:5], v[4:5], v[2:3]
	v_fma_f64 v[2:3], v[68:69], s[54:55], v[8:9]
	v_fma_f64 v[8:9], v[30:31], s[16:17], v[140:141]
	s_delay_alu instid0(VALU_DEP_2) | instskip(NEXT) | instid1(VALU_DEP_2)
	v_add_f64_e32 v[2:3], v[2:3], v[0:1]
	v_add_f64_e32 v[0:1], v[8:9], v[4:5]
	v_add_nc_u32_e32 v5, 0x99, v204
	v_fma_f64 v[8:9], v[58:59], s[22:23], v[208:209]
	s_delay_alu instid0(VALU_DEP_2) | instskip(NEXT) | instid1(VALU_DEP_1)
	v_mad_co_u64_u32 v[32:33], null, s8, v5, 0
	v_mov_b32_e32 v4, v33
	s_delay_alu instid0(VALU_DEP_1) | instskip(NEXT) | instid1(VALU_DEP_1)
	v_mad_co_u64_u32 v[4:5], null, s9, v5, v[4:5]
	v_mov_b32_e32 v33, v4
	s_delay_alu instid0(VALU_DEP_1) | instskip(SKIP_1) | instid1(VALU_DEP_2)
	v_lshlrev_b64_e32 v[4:5], 4, v[32:33]
	v_fma_f64 v[32:33], v[58:59], s[6:7], v[152:153]
	v_add_co_u32 v4, vcc_lo, v138, v4
	s_wait_alu 0xfffd
	s_delay_alu instid0(VALU_DEP_3) | instskip(SKIP_4) | instid1(VALU_DEP_3)
	v_add_co_ci_u32_e32 v5, vcc_lo, v139, v5, vcc_lo
	global_store_b128 v[4:5], v[0:3], off
	v_fma_f64 v[0:1], v[76:77], s[26:27], v[232:233]
	v_fma_f64 v[2:3], v[74:75], s[18:19], v[234:235]
	;; [unrolled: 1-line block ×3, first 2 shown]
	v_add_f64_e32 v[0:1], v[16:17], v[0:1]
	s_delay_alu instid0(VALU_DEP_1) | instskip(SKIP_1) | instid1(VALU_DEP_1)
	v_add_f64_e32 v[0:1], v[2:3], v[0:1]
	v_fma_f64 v[2:3], v[70:71], s[12:13], v[236:237]
	v_add_f64_e32 v[2:3], v[106:107], v[2:3]
	s_delay_alu instid0(VALU_DEP_1) | instskip(SKIP_1) | instid1(VALU_DEP_1)
	v_add_f64_e32 v[2:3], v[4:5], v[2:3]
	v_fma_f64 v[4:5], v[46:47], s[34:35], v[238:239]
	v_add_f64_e32 v[0:1], v[4:5], v[0:1]
	v_fma_f64 v[4:5], v[40:41], s[16:17], v[242:243]
	s_delay_alu instid0(VALU_DEP_1) | instskip(SKIP_1) | instid1(VALU_DEP_1)
	v_add_f64_e32 v[2:3], v[4:5], v[2:3]
	v_fma_f64 v[4:5], v[36:37], s[52:53], v[244:245]
	v_add_f64_e32 v[0:1], v[4:5], v[0:1]
	v_fma_f64 v[4:5], v[20:21], s[24:25], v[246:247]
	;; [unrolled: 5-line block ×4, first 2 shown]
	s_delay_alu instid0(VALU_DEP_1) | instskip(SKIP_3) | instid1(VALU_DEP_3)
	v_add_f64_e32 v[2:3], v[4:5], v[2:3]
	v_fma_f64 v[4:5], v[34:35], s[36:37], v[14:15]
	v_fma_f64 v[14:15], v[30:31], s[24:25], v[48:49]
	;; [unrolled: 1-line block ×3, first 2 shown]
	v_add_f64_e32 v[0:1], v[4:5], v[0:1]
	v_fma_f64 v[4:5], v[26:27], s[30:31], v[12:13]
	v_fma_f64 v[12:13], v[58:59], s[12:13], v[180:181]
	s_delay_alu instid0(VALU_DEP_2) | instskip(SKIP_2) | instid1(VALU_DEP_2)
	v_add_f64_e32 v[4:5], v[4:5], v[2:3]
	v_fma_f64 v[2:3], v[68:69], s[42:43], v[10:11]
	v_fma_f64 v[10:11], v[30:31], s[14:15], v[230:231]
	v_add_f64_e32 v[2:3], v[2:3], v[0:1]
	s_delay_alu instid0(VALU_DEP_4)
	v_add_f64_e32 v[0:1], v[6:7], v[4:5]
	v_fma_f64 v[4:5], v[76:77], s[40:41], v[44:45]
	v_fma_f64 v[6:7], v[74:75], s[38:39], v[42:43]
	scratch_load_b64 v[42:43], off, off offset:104 th:TH_LOAD_LU ; 8-byte Folded Reload
	v_fma_f64 v[44:45], v[70:71], s[14:15], v[144:145]
	v_add_f64_e32 v[4:5], v[16:17], v[4:5]
	s_delay_alu instid0(VALU_DEP_1) | instskip(SKIP_2) | instid1(VALU_DEP_2)
	v_add_f64_e32 v[4:5], v[6:7], v[4:5]
	v_fma_f64 v[6:7], v[70:71], s[24:25], v[38:39]
	v_fma_f64 v[38:39], v[30:31], s[30:31], v[174:175]
	v_add_f64_e32 v[6:7], v[106:107], v[6:7]
	s_delay_alu instid0(VALU_DEP_1) | instskip(SKIP_1) | instid1(VALU_DEP_1)
	v_add_f64_e32 v[6:7], v[8:9], v[6:7]
	v_fma_f64 v[8:9], v[46:47], s[20:21], v[206:207]
	v_add_f64_e32 v[4:5], v[8:9], v[4:5]
	v_fma_f64 v[8:9], v[40:41], s[0:1], v[210:211]
	s_delay_alu instid0(VALU_DEP_1) | instskip(SKIP_1) | instid1(VALU_DEP_1)
	v_add_f64_e32 v[6:7], v[8:9], v[6:7]
	v_fma_f64 v[8:9], v[36:37], s[26:27], v[212:213]
	v_add_f64_e32 v[4:5], v[8:9], v[4:5]
	v_fma_f64 v[8:9], v[20:21], s[12:13], v[214:215]
	s_delay_alu instid0(VALU_DEP_1) | instskip(SKIP_1) | instid1(VALU_DEP_1)
	v_add_f64_e32 v[6:7], v[8:9], v[6:7]
	v_fma_f64 v[8:9], v[28:29], s[54:55], v[216:217]
	v_add_f64_e32 v[4:5], v[8:9], v[4:5]
	v_fma_f64 v[8:9], v[18:19], s[16:17], v[218:219]
	s_delay_alu instid0(VALU_DEP_1) | instskip(SKIP_1) | instid1(VALU_DEP_1)
	v_add_f64_e32 v[6:7], v[8:9], v[6:7]
	v_fma_f64 v[8:9], v[24:25], s[48:49], v[220:221]
	v_add_f64_e32 v[4:5], v[8:9], v[4:5]
	v_fma_f64 v[8:9], v[22:23], s[30:31], v[222:223]
	s_delay_alu instid0(VALU_DEP_1) | instskip(SKIP_1) | instid1(VALU_DEP_1)
	v_add_f64_e32 v[6:7], v[8:9], v[6:7]
	v_fma_f64 v[8:9], v[34:35], s[28:29], v[224:225]
	v_add_f64_e32 v[4:5], v[8:9], v[4:5]
	v_fma_f64 v[8:9], v[26:27], s[6:7], v[226:227]
	s_delay_alu instid0(VALU_DEP_1) | instskip(SKIP_1) | instid1(VALU_DEP_1)
	v_add_f64_e32 v[8:9], v[8:9], v[6:7]
	v_fma_f64 v[6:7], v[68:69], s[18:19], v[228:229]
	v_add_f64_e32 v[6:7], v[6:7], v[4:5]
	s_delay_alu instid0(VALU_DEP_3)
	v_add_f64_e32 v[4:5], v[10:11], v[8:9]
	v_fma_f64 v[8:9], v[76:77], s[42:43], v[54:55]
	v_fma_f64 v[10:11], v[74:75], s[44:45], v[52:53]
	;; [unrolled: 1-line block ×5, first 2 shown]
	v_add_f64_e32 v[8:9], v[16:17], v[8:9]
	s_delay_alu instid0(VALU_DEP_1) | instskip(SKIP_1) | instid1(VALU_DEP_1)
	v_add_f64_e32 v[8:9], v[10:11], v[8:9]
	v_fma_f64 v[10:11], v[70:71], s[22:23], v[176:177]
	v_add_f64_e32 v[10:11], v[106:107], v[10:11]
	s_delay_alu instid0(VALU_DEP_1) | instskip(SKIP_1) | instid1(VALU_DEP_1)
	v_add_f64_e32 v[10:11], v[12:13], v[10:11]
	v_fma_f64 v[12:13], v[46:47], s[36:37], v[178:179]
	v_add_f64_e32 v[8:9], v[12:13], v[8:9]
	v_fma_f64 v[12:13], v[40:41], s[30:31], v[182:183]
	s_delay_alu instid0(VALU_DEP_1) | instskip(SKIP_1) | instid1(VALU_DEP_1)
	v_add_f64_e32 v[10:11], v[12:13], v[10:11]
	v_fma_f64 v[12:13], v[36:37], s[46:47], v[184:185]
	v_add_f64_e32 v[8:9], v[12:13], v[8:9]
	v_fma_f64 v[12:13], v[20:21], s[14:15], v[186:187]
	;; [unrolled: 5-line block ×5, first 2 shown]
	s_delay_alu instid0(VALU_DEP_1)
	v_add_f64_e32 v[12:13], v[12:13], v[10:11]
	v_fma_f64 v[10:11], v[68:69], s[40:41], v[50:51]
	scratch_load_b64 v[50:51], off, off offset:120 th:TH_LOAD_LU ; 8-byte Folded Reload
	v_add_f64_e32 v[10:11], v[10:11], v[8:9]
	v_add_f64_e32 v[8:9], v[14:15], v[12:13]
	v_fma_f64 v[12:13], v[76:77], s[34:35], v[60:61]
	v_fma_f64 v[14:15], v[74:75], s[28:29], v[56:57]
	scratch_load_b64 v[56:57], off, off offset:96 th:TH_LOAD_LU ; 8-byte Folded Reload
	s_wait_loadcnt 0x2
	v_fma_f64 v[42:43], v[76:77], s[20:21], v[42:43]
	v_fma_f64 v[60:61], v[58:59], s[24:25], v[88:89]
	v_add_f64_e32 v[12:13], v[16:17], v[12:13]
	s_delay_alu instid0(VALU_DEP_1) | instskip(SKIP_1) | instid1(VALU_DEP_1)
	v_add_f64_e32 v[12:13], v[14:15], v[12:13]
	v_fma_f64 v[14:15], v[70:71], s[16:17], v[148:149]
	v_add_f64_e32 v[14:15], v[106:107], v[14:15]
	s_delay_alu instid0(VALU_DEP_1) | instskip(SKIP_1) | instid1(VALU_DEP_1)
	v_add_f64_e32 v[14:15], v[32:33], v[14:15]
	v_fma_f64 v[32:33], v[46:47], s[38:39], v[150:151]
	v_add_f64_e32 v[12:13], v[32:33], v[12:13]
	v_fma_f64 v[32:33], v[40:41], s[22:23], v[154:155]
	s_delay_alu instid0(VALU_DEP_1) | instskip(SKIP_1) | instid1(VALU_DEP_1)
	v_add_f64_e32 v[14:15], v[32:33], v[14:15]
	v_fma_f64 v[32:33], v[36:37], s[2:3], v[156:157]
	v_add_f64_e32 v[12:13], v[32:33], v[12:13]
	v_fma_f64 v[32:33], v[20:21], s[0:1], v[158:159]
	s_wait_loadcnt 0x1
	v_fma_f64 v[50:51], v[70:71], s[0:1], v[50:51]
	scratch_load_b64 v[70:71], off, off offset:112 th:TH_LOAD_LU ; 8-byte Folded Reload
	v_add_f64_e32 v[14:15], v[32:33], v[14:15]
	v_fma_f64 v[32:33], v[28:29], s[46:47], v[160:161]
	s_delay_alu instid0(VALU_DEP_1) | instskip(SKIP_1) | instid1(VALU_DEP_1)
	v_add_f64_e32 v[12:13], v[32:33], v[12:13]
	v_fma_f64 v[32:33], v[18:19], s[14:15], v[162:163]
	v_add_f64_e32 v[14:15], v[32:33], v[14:15]
	v_fma_f64 v[32:33], v[24:25], s[26:27], v[164:165]
	s_delay_alu instid0(VALU_DEP_1) | instskip(SKIP_1) | instid1(VALU_DEP_1)
	v_add_f64_e32 v[12:13], v[32:33], v[12:13]
	v_fma_f64 v[32:33], v[22:23], s[12:13], v[166:167]
	;; [unrolled: 5-line block ×3, first 2 shown]
	v_add_f64_e32 v[32:33], v[32:33], v[14:15]
	v_fma_f64 v[14:15], v[68:69], s[36:37], v[172:173]
	s_delay_alu instid0(VALU_DEP_1) | instskip(NEXT) | instid1(VALU_DEP_3)
	v_add_f64_e32 v[14:15], v[14:15], v[12:13]
	v_add_f64_e32 v[12:13], v[38:39], v[32:33]
	v_fma_f64 v[32:33], v[76:77], s[46:47], v[146:147]
	v_fma_f64 v[38:39], v[76:77], s[48:49], v[110:111]
	s_delay_alu instid0(VALU_DEP_2) | instskip(NEXT) | instid1(VALU_DEP_2)
	v_add_f64_e32 v[32:33], v[16:17], v[32:33]
	v_add_f64_e32 v[38:39], v[16:17], v[38:39]
	;; [unrolled: 1-line block ×6, first 2 shown]
	v_fma_f64 v[50:51], v[46:47], s[50:51], v[64:65]
	v_fma_f64 v[64:65], v[46:47], s[40:41], v[66:67]
	v_add_f64_e32 v[32:33], v[52:53], v[32:33]
	v_add_f64_e32 v[38:39], v[54:55], v[38:39]
	v_fma_f64 v[52:53], v[40:41], s[6:7], v[136:137]
	v_add_f64_e32 v[42:43], v[60:61], v[42:43]
	v_add_f64_e32 v[44:45], v[62:63], v[44:45]
	v_fma_f64 v[54:55], v[40:41], s[24:25], v[72:73]
	scratch_load_b64 v[60:61], off, off offset:80 th:TH_LOAD_LU ; 8-byte Folded Reload
	s_wait_loadcnt 0x2
	v_fma_f64 v[56:57], v[74:75], s[48:49], v[56:57]
	v_add_f64_e32 v[32:33], v[50:51], v[32:33]
	v_fma_f64 v[50:51], v[20:21], s[22:23], v[132:133]
	v_add_f64_e32 v[38:39], v[64:65], v[38:39]
	v_add_f64_e32 v[42:43], v[52:53], v[42:43]
	v_fma_f64 v[52:53], v[20:21], s[6:7], v[84:85]
	v_add_f64_e32 v[44:45], v[54:55], v[44:45]
	scratch_load_b64 v[54:55], off, off offset:64 th:TH_LOAD_LU ; 8-byte Folded Reload
	v_add_f64_e32 v[16:17], v[56:57], v[16:17]
	v_fma_f64 v[56:57], v[36:37], s[38:39], v[134:135]
	v_add_f64_e32 v[42:43], v[50:51], v[42:43]
	v_fma_f64 v[50:51], v[18:19], s[30:31], v[128:129]
	v_add_f64_e32 v[44:45], v[52:53], v[44:45]
	s_clause 0x1
	scratch_load_b64 v[52:53], off, off offset:176 th:TH_LOAD_LU
	scratch_load_b64 v[66:67], off, off offset:88 th:TH_LOAD_LU
	s_wait_loadcnt 0x4
	v_fma_f64 v[58:59], v[58:59], s[30:31], v[70:71]
	v_add_f64_e32 v[32:33], v[56:57], v[32:33]
	v_add_f64_e32 v[42:43], v[50:51], v[42:43]
	scratch_load_b64 v[50:51], off, off offset:32 th:TH_LOAD_LU ; 8-byte Folded Reload
	v_add_f64_e32 v[48:49], v[58:59], v[48:49]
	v_fma_f64 v[58:59], v[36:37], s[28:29], v[82:83]
	s_delay_alu instid0(VALU_DEP_1)
	v_add_f64_e32 v[38:39], v[58:59], v[38:39]
	s_wait_loadcnt 0x3
	v_fma_f64 v[20:21], v[20:21], s[16:17], v[54:55]
	scratch_load_b64 v[54:55], off, off offset:56 th:TH_LOAD_LU ; 8-byte Folded Reload
	v_fma_f64 v[40:41], v[40:41], s[14:15], v[60:61]
	scratch_load_b64 v[60:61], off, off offset:72 th:TH_LOAD_LU ; 8-byte Folded Reload
	s_wait_loadcnt 0x4
	v_fma_f64 v[52:53], v[18:19], s[12:13], v[52:53]
	s_wait_loadcnt 0x3
	v_fma_f64 v[46:47], v[46:47], s[46:47], v[66:67]
	v_add_f64_e32 v[40:41], v[40:41], v[48:49]
	scratch_load_b64 v[48:49], off, off offset:184 th:TH_LOAD_LU ; 8-byte Folded Reload
	v_add_f64_e32 v[44:45], v[52:53], v[44:45]
	v_add_f64_e32 v[16:17], v[46:47], v[16:17]
	;; [unrolled: 1-line block ×3, first 2 shown]
	scratch_load_b64 v[40:41], off, off offset:168 th:TH_LOAD_LU ; 8-byte Folded Reload
	v_fma_f64 v[46:47], v[28:29], s[36:37], v[130:131]
	s_delay_alu instid0(VALU_DEP_1)
	v_add_f64_e32 v[32:33], v[46:47], v[32:33]
	v_fma_f64 v[46:47], v[22:23], s[0:1], v[124:125]
	s_wait_loadcnt 0x1
	v_fma_f64 v[48:49], v[28:29], s[44:45], v[48:49]
	v_fma_f64 v[28:29], v[28:29], s[42:43], v[54:55]
	scratch_load_b64 v[54:55], off, off offset:48 th:TH_LOAD_LU ; 8-byte Folded Reload
	v_fma_f64 v[36:37], v[36:37], s[34:35], v[60:61]
	v_add_f64_e32 v[38:39], v[48:49], v[38:39]
	scratch_load_b64 v[48:49], off, off offset:160 th:TH_LOAD_LU ; 8-byte Folded Reload
	s_wait_loadcnt 0x2
	v_fma_f64 v[40:41], v[24:25], s[38:39], v[40:41]
	v_add_f64_e32 v[16:17], v[36:37], v[16:17]
	v_fma_f64 v[36:37], v[24:25], s[20:21], v[126:127]
	s_delay_alu instid0(VALU_DEP_3) | instskip(NEXT) | instid1(VALU_DEP_3)
	v_add_f64_e32 v[38:39], v[40:41], v[38:39]
	v_add_f64_e32 v[16:17], v[28:29], v[16:17]
	scratch_load_b64 v[28:29], off, off offset:152 th:TH_LOAD_LU ; 8-byte Folded Reload
	v_add_f64_e32 v[32:33], v[36:37], v[32:33]
	v_add_f64_e32 v[36:37], v[46:47], v[42:43]
	scratch_load_b64 v[46:47], off, off offset:16 th:TH_LOAD_LU ; 8-byte Folded Reload
	v_fma_f64 v[42:43], v[26:27], s[16:17], v[120:121]
	s_wait_loadcnt 0x3
	v_fma_f64 v[18:19], v[18:19], s[22:23], v[54:55]
	scratch_load_b64 v[54:55], off, off offset:40 th:TH_LOAD_LU ; 8-byte Folded Reload
	s_wait_loadcnt 0x3
	v_fma_f64 v[48:49], v[22:23], s[22:23], v[48:49]
	v_fma_f64 v[22:23], v[22:23], s[24:25], v[50:51]
	scratch_load_b64 v[50:51], off, off offset:24 th:TH_LOAD_LU ; 8-byte Folded Reload
	v_add_f64_e32 v[18:19], v[18:19], v[20:21]
	v_fma_f64 v[20:21], v[34:35], s[34:35], v[122:123]
	v_add_f64_e32 v[40:41], v[48:49], v[44:45]
	scratch_load_b64 v[44:45], off, off offset:144 th:TH_LOAD_LU ; 8-byte Folded Reload
	s_wait_loadcnt 0x4
	v_fma_f64 v[28:29], v[34:35], s[18:19], v[28:29]
	v_add_f64_e32 v[20:21], v[20:21], v[32:33]
	v_add_f64_e32 v[32:33], v[42:43], v[36:37]
	;; [unrolled: 1-line block ×3, first 2 shown]
	v_fma_f64 v[22:23], v[68:69], s[26:27], v[118:119]
	scratch_load_b64 v[42:43], off, off th:TH_LOAD_LU ; 8-byte Folded Reload
	v_add_f64_e32 v[28:29], v[28:29], v[38:39]
	v_fma_f64 v[38:39], v[30:31], s[12:13], v[116:117]
	s_wait_loadcnt 0x3
	v_fma_f64 v[24:25], v[24:25], s[40:41], v[54:55]
	s_delay_alu instid0(VALU_DEP_1)
	v_add_f64_e32 v[16:17], v[24:25], v[16:17]
	scratch_load_b64 v[24:25], off, off offset:136 th:TH_LOAD_LU ; 8-byte Folded Reload
	s_wait_loadcnt 0x2
	v_fma_f64 v[44:45], v[26:27], s[14:15], v[44:45]
	v_fma_f64 v[26:27], v[26:27], s[12:13], v[46:47]
	scratch_load_b64 v[46:47], off, off offset:8 th:TH_LOAD_LU ; 8-byte Folded Reload
	v_fma_f64 v[34:35], v[34:35], s[26:27], v[50:51]
	v_add_f64_e32 v[36:37], v[44:45], v[40:41]
	scratch_load_b64 v[40:41], off, off offset:128 th:TH_LOAD_LU ; 8-byte Folded Reload
	v_add_nc_u32_e32 v44, 0xaa, v204
	v_add_f64_e32 v[34:35], v[34:35], v[16:17]
	v_add_f64_e32 v[16:17], v[38:39], v[32:33]
	v_add_nc_u32_e32 v38, 0xbb, v204
	s_delay_alu instid0(VALU_DEP_4)
	v_mad_co_u64_u32 v[32:33], null, s8, v44, 0
	v_add_nc_u32_e32 v39, 0xcc, v204
	s_wait_loadcnt 0x2
	v_fma_f64 v[24:25], v[68:69], s[2:3], v[24:25]
	s_wait_loadcnt 0x1
	v_fma_f64 v[46:47], v[68:69], s[28:29], v[46:47]
	;; [unrolled: 2-line block ×3, first 2 shown]
	v_fma_f64 v[30:31], v[30:31], s[6:7], v[42:43]
	v_add_f64_e32 v[42:43], v[26:27], v[18:19]
	v_add_f64_e32 v[18:19], v[22:23], v[20:21]
	;; [unrolled: 1-line block ×3, first 2 shown]
	v_mad_co_u64_u32 v[28:29], null, s8, v38, 0
	v_add_f64_e32 v[26:27], v[46:47], v[34:35]
	v_add_f64_e32 v[20:21], v[40:41], v[36:37]
	v_add_nc_u32_e32 v40, 0xff, v204
	v_add_f64_e32 v[24:25], v[30:31], v[42:43]
	v_mov_b32_e32 v30, v33
	v_mad_co_u64_u32 v[36:37], null, s8, v39, 0
	v_add_nc_u32_e32 v42, 0x110, v204
	s_delay_alu instid0(VALU_DEP_3) | instskip(NEXT) | instid1(VALU_DEP_1)
	v_mad_co_u64_u32 v[30:31], null, s9, v44, v[30:31]
	v_mad_co_u64_u32 v[34:35], null, s9, v38, v[29:30]
	s_delay_alu instid0(VALU_DEP_4) | instskip(SKIP_2) | instid1(VALU_DEP_3)
	v_mov_b32_e32 v29, v37
	v_add_nc_u32_e32 v35, 0xdd, v204
	v_mov_b32_e32 v33, v30
	v_mad_co_u64_u32 v[37:38], null, s9, v39, v[29:30]
	s_delay_alu instid0(VALU_DEP_3) | instskip(SKIP_1) | instid1(VALU_DEP_1)
	v_mad_co_u64_u32 v[30:31], null, s8, v35, 0
	v_mov_b32_e32 v29, v34
	v_lshlrev_b64_e32 v[28:29], 4, v[28:29]
	s_delay_alu instid0(VALU_DEP_3) | instskip(SKIP_2) | instid1(VALU_DEP_2)
	v_mad_co_u64_u32 v[34:35], null, s9, v35, v[31:32]
	v_add_nc_u32_e32 v35, 0xee, v204
	v_lshlrev_b64_e32 v[32:33], 4, v[32:33]
	v_mad_co_u64_u32 v[38:39], null, s8, v35, 0
	s_delay_alu instid0(VALU_DEP_4) | instskip(NEXT) | instid1(VALU_DEP_3)
	v_mov_b32_e32 v31, v34
	v_add_co_u32 v32, vcc_lo, v138, v32
	s_wait_alu 0xfffd
	s_delay_alu instid0(VALU_DEP_4)
	v_add_co_ci_u32_e32 v33, vcc_lo, v139, v33, vcc_lo
	v_add_co_u32 v28, vcc_lo, v138, v28
	v_mov_b32_e32 v34, v39
	v_lshlrev_b64_e32 v[30:31], 4, v[30:31]
	s_wait_alu 0xfffd
	v_add_co_ci_u32_e32 v29, vcc_lo, v139, v29, vcc_lo
	s_delay_alu instid0(VALU_DEP_3) | instskip(NEXT) | instid1(VALU_DEP_1)
	v_mad_co_u64_u32 v[34:35], null, s9, v35, v[34:35]
	v_mov_b32_e32 v39, v34
	v_mad_co_u64_u32 v[34:35], null, s8, v40, 0
	s_delay_alu instid0(VALU_DEP_2) | instskip(NEXT) | instid1(VALU_DEP_2)
	v_lshlrev_b64_e32 v[38:39], 4, v[38:39]
	v_mad_co_u64_u32 v[40:41], null, s9, v40, v[35:36]
	v_lshlrev_b64_e32 v[36:37], 4, v[36:37]
	s_delay_alu instid0(VALU_DEP_2) | instskip(SKIP_1) | instid1(VALU_DEP_3)
	v_mov_b32_e32 v35, v40
	v_mad_co_u64_u32 v[40:41], null, s8, v42, 0
	v_add_co_u32 v36, vcc_lo, v138, v36
	s_wait_alu 0xfffd
	s_delay_alu instid0(VALU_DEP_4) | instskip(SKIP_1) | instid1(VALU_DEP_4)
	v_add_co_ci_u32_e32 v37, vcc_lo, v139, v37, vcc_lo
	v_add_co_u32 v30, vcc_lo, v138, v30
	v_mad_co_u64_u32 v[41:42], null, s9, v42, v[41:42]
	v_lshlrev_b64_e32 v[34:35], 4, v[34:35]
	s_wait_alu 0xfffd
	v_add_co_ci_u32_e32 v31, vcc_lo, v139, v31, vcc_lo
	v_add_co_u32 v38, vcc_lo, v138, v38
	s_wait_alu 0xfffd
	v_add_co_ci_u32_e32 v39, vcc_lo, v139, v39, vcc_lo
	v_lshlrev_b64_e32 v[40:41], 4, v[40:41]
	v_add_co_u32 v34, vcc_lo, v138, v34
	s_wait_alu 0xfffd
	v_add_co_ci_u32_e32 v35, vcc_lo, v139, v35, vcc_lo
	s_delay_alu instid0(VALU_DEP_3)
	v_add_co_u32 v40, vcc_lo, v138, v40
	s_wait_alu 0xfffd
	v_add_co_ci_u32_e32 v41, vcc_lo, v139, v41, vcc_lo
	s_clause 0x6
	global_store_b128 v[32:33], v[0:3], off
	global_store_b128 v[28:29], v[4:7], off
	;; [unrolled: 1-line block ×7, first 2 shown]
.LBB0_12:
	s_endpgm
	.section	.rodata,"a",@progbits
	.p2align	6, 0x0
	.amdhsa_kernel fft_rtc_fwd_len289_factors_17_17_wgs_119_tpt_17_halfLds_dp_ip_CI_sbrr_dirReg
		.amdhsa_group_segment_fixed_size 0
		.amdhsa_private_segment_fixed_size 196
		.amdhsa_kernarg_size 88
		.amdhsa_user_sgpr_count 2
		.amdhsa_user_sgpr_dispatch_ptr 0
		.amdhsa_user_sgpr_queue_ptr 0
		.amdhsa_user_sgpr_kernarg_segment_ptr 1
		.amdhsa_user_sgpr_dispatch_id 0
		.amdhsa_user_sgpr_private_segment_size 0
		.amdhsa_wavefront_size32 1
		.amdhsa_uses_dynamic_stack 0
		.amdhsa_enable_private_segment 1
		.amdhsa_system_sgpr_workgroup_id_x 1
		.amdhsa_system_sgpr_workgroup_id_y 0
		.amdhsa_system_sgpr_workgroup_id_z 0
		.amdhsa_system_sgpr_workgroup_info 0
		.amdhsa_system_vgpr_workitem_id 0
		.amdhsa_next_free_vgpr 256
		.amdhsa_next_free_sgpr 56
		.amdhsa_reserve_vcc 1
		.amdhsa_float_round_mode_32 0
		.amdhsa_float_round_mode_16_64 0
		.amdhsa_float_denorm_mode_32 3
		.amdhsa_float_denorm_mode_16_64 3
		.amdhsa_fp16_overflow 0
		.amdhsa_workgroup_processor_mode 1
		.amdhsa_memory_ordered 1
		.amdhsa_forward_progress 0
		.amdhsa_round_robin_scheduling 0
		.amdhsa_exception_fp_ieee_invalid_op 0
		.amdhsa_exception_fp_denorm_src 0
		.amdhsa_exception_fp_ieee_div_zero 0
		.amdhsa_exception_fp_ieee_overflow 0
		.amdhsa_exception_fp_ieee_underflow 0
		.amdhsa_exception_fp_ieee_inexact 0
		.amdhsa_exception_int_div_zero 0
	.end_amdhsa_kernel
	.text
.Lfunc_end0:
	.size	fft_rtc_fwd_len289_factors_17_17_wgs_119_tpt_17_halfLds_dp_ip_CI_sbrr_dirReg, .Lfunc_end0-fft_rtc_fwd_len289_factors_17_17_wgs_119_tpt_17_halfLds_dp_ip_CI_sbrr_dirReg
                                        ; -- End function
	.section	.AMDGPU.csdata,"",@progbits
; Kernel info:
; codeLenInByte = 14968
; NumSgprs: 58
; NumVgprs: 256
; ScratchSize: 196
; MemoryBound: 1
; FloatMode: 240
; IeeeMode: 1
; LDSByteSize: 0 bytes/workgroup (compile time only)
; SGPRBlocks: 7
; VGPRBlocks: 31
; NumSGPRsForWavesPerEU: 58
; NumVGPRsForWavesPerEU: 256
; Occupancy: 5
; WaveLimiterHint : 1
; COMPUTE_PGM_RSRC2:SCRATCH_EN: 1
; COMPUTE_PGM_RSRC2:USER_SGPR: 2
; COMPUTE_PGM_RSRC2:TRAP_HANDLER: 0
; COMPUTE_PGM_RSRC2:TGID_X_EN: 1
; COMPUTE_PGM_RSRC2:TGID_Y_EN: 0
; COMPUTE_PGM_RSRC2:TGID_Z_EN: 0
; COMPUTE_PGM_RSRC2:TIDIG_COMP_CNT: 0
	.text
	.p2alignl 7, 3214868480
	.fill 96, 4, 3214868480
	.type	__hip_cuid_4642ef910c602e16,@object ; @__hip_cuid_4642ef910c602e16
	.section	.bss,"aw",@nobits
	.globl	__hip_cuid_4642ef910c602e16
__hip_cuid_4642ef910c602e16:
	.byte	0                               ; 0x0
	.size	__hip_cuid_4642ef910c602e16, 1

	.ident	"AMD clang version 19.0.0git (https://github.com/RadeonOpenCompute/llvm-project roc-6.4.0 25133 c7fe45cf4b819c5991fe208aaa96edf142730f1d)"
	.section	".note.GNU-stack","",@progbits
	.addrsig
	.addrsig_sym __hip_cuid_4642ef910c602e16
	.amdgpu_metadata
---
amdhsa.kernels:
  - .args:
      - .actual_access:  read_only
        .address_space:  global
        .offset:         0
        .size:           8
        .value_kind:     global_buffer
      - .offset:         8
        .size:           8
        .value_kind:     by_value
      - .actual_access:  read_only
        .address_space:  global
        .offset:         16
        .size:           8
        .value_kind:     global_buffer
      - .actual_access:  read_only
        .address_space:  global
        .offset:         24
        .size:           8
        .value_kind:     global_buffer
      - .offset:         32
        .size:           8
        .value_kind:     by_value
      - .actual_access:  read_only
        .address_space:  global
        .offset:         40
        .size:           8
        .value_kind:     global_buffer
      - .actual_access:  read_only
        .address_space:  global
        .offset:         48
        .size:           8
        .value_kind:     global_buffer
      - .offset:         56
        .size:           4
        .value_kind:     by_value
      - .actual_access:  read_only
        .address_space:  global
        .offset:         64
        .size:           8
        .value_kind:     global_buffer
      - .actual_access:  read_only
        .address_space:  global
        .offset:         72
        .size:           8
        .value_kind:     global_buffer
      - .address_space:  global
        .offset:         80
        .size:           8
        .value_kind:     global_buffer
    .group_segment_fixed_size: 0
    .kernarg_segment_align: 8
    .kernarg_segment_size: 88
    .language:       OpenCL C
    .language_version:
      - 2
      - 0
    .max_flat_workgroup_size: 119
    .name:           fft_rtc_fwd_len289_factors_17_17_wgs_119_tpt_17_halfLds_dp_ip_CI_sbrr_dirReg
    .private_segment_fixed_size: 196
    .sgpr_count:     58
    .sgpr_spill_count: 0
    .symbol:         fft_rtc_fwd_len289_factors_17_17_wgs_119_tpt_17_halfLds_dp_ip_CI_sbrr_dirReg.kd
    .uniform_work_group_size: 1
    .uses_dynamic_stack: false
    .vgpr_count:     256
    .vgpr_spill_count: 48
    .wavefront_size: 32
    .workgroup_processor_mode: 1
amdhsa.target:   amdgcn-amd-amdhsa--gfx1201
amdhsa.version:
  - 1
  - 2
...

	.end_amdgpu_metadata
